;; amdgpu-corpus repo=ROCm/Tensile kind=harvested arch=n/a opt=n/a

/******************************************/
/* Function Prefix                        */
/******************************************/



/******************************************/
/* Begin Kernel                           */
/******************************************/

// Component.Signature.SignatureDefault
.amdgcn_target "amdgcn-amd-amdhsa--gfx908"
.text
.protected Cijk_Ailk_Bljk_HHS_BH_MT160x128x32_MI32x32x8x1_SN_1LDSB0_APM1_AF0EM1_AF1EM1_AMAS0_ASE_ASAE01_ASCE01_ASEM1_BL1_DTLA0_DTLB0_DVO0_EPS0_FL0_GLVWA4_GLVWB4_GRVW4_GSU1_GSUASB_ISA908_IU1_K1_KLA_LBSPPA0_LBSPPB128_LPA0_LPB8_LDL1_LRVW8_LDW0_MAC_MDA2_MMFGLC_NTC0_NTD0_NEPBS0_NLCA5_NLCB1_ONLL1_OPLV0_PK0_PAP0_PGR2_PLR5_SIA3_SS0_SU0_SUM0_SUS0_SPO0_SRVW0_SSO0_SVW4_SNLL0_TT5_32_TLDS1_UMLDSA0_UMLDSB1_USFGROn1_VAW2_VSn1_VW1_VWB1_WSGRA1_WSGRB1_WG32_8_1_WGM1
.globl Cijk_Ailk_Bljk_HHS_BH_MT160x128x32_MI32x32x8x1_SN_1LDSB0_APM1_AF0EM1_AF1EM1_AMAS0_ASE_ASAE01_ASCE01_ASEM1_BL1_DTLA0_DTLB0_DVO0_EPS0_FL0_GLVWA4_GLVWB4_GRVW4_GSU1_GSUASB_ISA908_IU1_K1_KLA_LBSPPA0_LBSPPB128_LPA0_LPB8_LDL1_LRVW8_LDW0_MAC_MDA2_MMFGLC_NTC0_NTD0_NEPBS0_NLCA5_NLCB1_ONLL1_OPLV0_PK0_PAP0_PGR2_PLR5_SIA3_SS0_SU0_SUM0_SUS0_SPO0_SRVW0_SSO0_SVW4_SNLL0_TT5_32_TLDS1_UMLDSA0_UMLDSB1_USFGROn1_VAW2_VSn1_VW1_VWB1_WSGRA1_WSGRB1_WG32_8_1_WGM1
.p2align 8
.type Cijk_Ailk_Bljk_HHS_BH_MT160x128x32_MI32x32x8x1_SN_1LDSB0_APM1_AF0EM1_AF1EM1_AMAS0_ASE_ASAE01_ASCE01_ASEM1_BL1_DTLA0_DTLB0_DVO0_EPS0_FL0_GLVWA4_GLVWB4_GRVW4_GSU1_GSUASB_ISA908_IU1_K1_KLA_LBSPPA0_LBSPPB128_LPA0_LPB8_LDL1_LRVW8_LDW0_MAC_MDA2_MMFGLC_NTC0_NTD0_NEPBS0_NLCA5_NLCB1_ONLL1_OPLV0_PK0_PAP0_PGR2_PLR5_SIA3_SS0_SU0_SUM0_SUS0_SPO0_SRVW0_SSO0_SVW4_SNLL0_TT5_32_TLDS1_UMLDSA0_UMLDSB1_USFGROn1_VAW2_VSn1_VW1_VWB1_WSGRA1_WSGRB1_WG32_8_1_WGM1,@function
.section .rodata,#alloc
.p2align 6
.amdhsa_kernel Cijk_Ailk_Bljk_HHS_BH_MT160x128x32_MI32x32x8x1_SN_1LDSB0_APM1_AF0EM1_AF1EM1_AMAS0_ASE_ASAE01_ASCE01_ASEM1_BL1_DTLA0_DTLB0_DVO0_EPS0_FL0_GLVWA4_GLVWB4_GRVW4_GSU1_GSUASB_ISA908_IU1_K1_KLA_LBSPPA0_LBSPPB128_LPA0_LPB8_LDL1_LRVW8_LDW0_MAC_MDA2_MMFGLC_NTC0_NTD0_NEPBS0_NLCA5_NLCB1_ONLL1_OPLV0_PK0_PAP0_PGR2_PLR5_SIA3_SS0_SU0_SUM0_SUS0_SPO0_SRVW0_SSO0_SVW4_SNLL0_TT5_32_TLDS1_UMLDSA0_UMLDSB1_USFGROn1_VAW2_VSn1_VW1_VWB1_WSGRA1_WSGRB1_WG32_8_1_WGM1
  .amdhsa_user_sgpr_kernarg_segment_ptr 1
  .amdhsa_user_sgpr_count 2
  .amdhsa_next_free_vgpr 256 // vgprs
  .amdhsa_next_free_sgpr 58 // sgprs
  .amdhsa_group_segment_fixed_size 52224 // lds bytes
  .amdhsa_private_segment_fixed_size 0
  .amdhsa_system_sgpr_workgroup_id_x 1
  .amdhsa_system_sgpr_workgroup_id_y 1
  .amdhsa_system_sgpr_workgroup_id_z 1
  .amdhsa_system_vgpr_workitem_id 0
  .amdhsa_float_denorm_mode_32 3
  .amdhsa_float_denorm_mode_16_64 3
.end_amdhsa_kernel
.text

/******************************************/
/* Optimizations and Config:              */
/******************************************/
/* ThreadTile= 80 x 1 */
/* SubGroup= 2 x 128 */
/* VectorWidthA=1 */
/* VectorWidthB=1 */
/* GlobalLoadVectorWidthA=4, GlobalLoadVectorWidthB=4 */
/* DirectToLdsA=False */
/* DirectToLdsB=False */
/* UseSgprForGRO=False */
.amdgpu_metadata
---
amdhsa.version:
  - 1
  - 1
amdhsa.target: amdgcn-amd-amdhsa--gfx908
amdhsa.kernels:
  - .name: Cijk_Ailk_Bljk_HHS_BH_MT160x128x32_MI32x32x8x1_SN_1LDSB0_APM1_AF0EM1_AF1EM1_AMAS0_ASE_ASAE01_ASCE01_ASEM1_BL1_DTLA0_DTLB0_DVO0_EPS0_FL0_GLVWA4_GLVWB4_GRVW4_GSU1_GSUASB_ISA908_IU1_K1_KLA_LBSPPA0_LBSPPB128_LPA0_LPB8_LDL1_LRVW8_LDW0_MAC_MDA2_MMFGLC_NTC0_NTD0_NEPBS0_NLCA5_NLCB1_ONLL1_OPLV0_PK0_PAP0_PGR2_PLR5_SIA3_SS0_SU0_SUM0_SUS0_SPO0_SRVW0_SSO0_SVW4_SNLL0_TT5_32_TLDS1_UMLDSA0_UMLDSB1_USFGROn1_VAW2_VSn1_VW1_VWB1_WSGRA1_WSGRB1_WG32_8_1_WGM1
    .symbol: 'Cijk_Ailk_Bljk_HHS_BH_MT160x128x32_MI32x32x8x1_SN_1LDSB0_APM1_AF0EM1_AF1EM1_AMAS0_ASE_ASAE01_ASCE01_ASEM1_BL1_DTLA0_DTLB0_DVO0_EPS0_FL0_GLVWA4_GLVWB4_GRVW4_GSU1_GSUASB_ISA908_IU1_K1_KLA_LBSPPA0_LBSPPB128_LPA0_LPB8_LDL1_LRVW8_LDW0_MAC_MDA2_MMFGLC_NTC0_NTD0_NEPBS0_NLCA5_NLCB1_ONLL1_OPLV0_PK0_PAP0_PGR2_PLR5_SIA3_SS0_SU0_SUM0_SUS0_SPO0_SRVW0_SSO0_SVW4_SNLL0_TT5_32_TLDS1_UMLDSA0_UMLDSB1_USFGROn1_VAW2_VSn1_VW1_VWB1_WSGRA1_WSGRB1_WG32_8_1_WGM1.kd'
    .language:                   OpenCL C
    .language_version:
      - 2
      - 0
    .args:
      - .name:            Tensor2dSizeA
        .size:            8
        .offset:          0
        .value_kind:      by_value
        .value_type:      u64
      - .name:            Tensor2dSizeB
        .size:            8
        .offset:          8
        .value_kind:      by_value
        .value_type:      u64
      - .name:            AddressD
        .size:            8
        .offset:          16
        .value_kind:      by_value
        .value_type:      u64
      - .name:            AddressC
        .size:            8
        .offset:          24
        .value_kind:      by_value
        .value_type:      u64
      - .name:            AddressA
        .size:            8
        .offset:          32
        .value_kind:      by_value
        .value_type:      u64
      - .name:            AddressB
        .size:            8
        .offset:          40
        .value_kind:      by_value
        .value_type:      u64
      - .name:            Alpha
        .size:            4
        .offset:          48
        .value_kind:      by_value
        .value_type:      u32
      - .name:            Beta
        .size:            4
        .offset:          52
        .value_kind:      by_value
        .value_type:      u32
      - .name:            StridesD
        .size:            8
        .offset:          56
        .value_kind:      by_value
        .value_type:      u64
      - .name:            StridesC
        .size:            8
        .offset:          64
        .value_kind:      by_value
        .value_type:      u64
      - .name:            StridesA
        .size:            8
        .offset:          72
        .value_kind:      by_value
        .value_type:      u64
      - .name:            StridesB
        .size:            8
        .offset:          80
        .value_kind:      by_value
        .value_type:      u64
      - .name:            SizesFree
        .size:            12
        .offset:          88
        .value_kind:      by_value
        .value_type:      u96
      - .name:            SizesSum
        .size:            4
        .offset:          100
        .value_kind:      by_value
        .value_type:      u32
      - .name:            NumWorkGroups0
        .size:            4
        .offset:          104
        .value_kind:      by_value
        .value_type:      u32
      - .name:            NumWorkGroups1
        .size:            4
        .offset:          108
        .value_kind:      by_value
        .value_type:      u32
    .group_segment_fixed_size:   52224
    .kernarg_segment_align:      8
    .kernarg_segment_size:       112
    .max_flat_workgroup_size:    256
    .private_segment_fixed_size: 0
    .sgpr_count:                 58
    .sgpr_spill_count:           0
    .vgpr_count:                 256
    .vgpr_spill_count:           0
    .wavefront_size:             64
...
.end_amdgpu_metadata
Cijk_Ailk_Bljk_HHS_BH_MT160x128x32_MI32x32x8x1_SN_1LDSB0_APM1_AF0EM1_AF1EM1_AMAS0_ASE_ASAE01_ASCE01_ASEM1_BL1_DTLA0_DTLB0_DVO0_EPS0_FL0_GLVWA4_GLVWB4_GRVW4_GSU1_GSUASB_ISA908_IU1_K1_KLA_LBSPPA0_LBSPPB128_LPA0_LPB8_LDL1_LRVW8_LDW0_MAC_MDA2_MMFGLC_NTC0_NTD0_NEPBS0_NLCA5_NLCB1_ONLL1_OPLV0_PK0_PAP0_PGR2_PLR5_SIA3_SS0_SU0_SUM0_SUS0_SPO0_SRVW0_SSO0_SVW4_SNLL0_TT5_32_TLDS1_UMLDSA0_UMLDSB1_USFGROn1_VAW2_VSn1_VW1_VWB1_WSGRA1_WSGRB1_WG32_8_1_WGM1:

/******************************************/
/* Asm syntax workarounds                 */
/******************************************/
.macro _v_add_co_u32 dst:req, cc:req, src0:req, src1:req, dpp=
   v_add_co_u32 \dst, \cc, \src0, \src1 \dpp
.endm

.macro _v_add_u32 dst:req, src0:req, src1:req, dpp=
   v_add_u32 \dst, \src0, \src1 \dpp
.endm

.macro _v_add_i32 dst:req, src0:req, src1:req, dpp=
   v_add_i32 \dst, \src0, \src1 \dpp
.endm

.macro _v_addc_co_u32 dst:req, ccOut:req, src0:req, ccIn:req, src1:req, dpp=
   v_addc_co_u32 \dst, \ccOut, \src0, \ccIn, \src1 \dpp
.endm

.macro _v_sub_co_u32 dst:req, cc:req, src0:req, src1:req, dpp=
   v_sub_co_u32 \dst, \cc, \src0, \src1 \dpp
.endm

.macro _v_sub_u32 dst:req, src0:req, src1:req, dpp=
   v_sub_u32 \dst, \src0, \src1 \dpp
.endm

.macro _v_sub_i32 dst:req, src0:req, src1:req, dpp=
   v_sub_i32 \dst, \src0, \src1 \dpp
.endm

.macro _v_add_lshl_u32 dst:req, src0:req, src1:req, shiftCnt:req
    v_add_lshl_u32 \dst, \src0, \src1, \shiftCnt
.endm

.macro _v_lshl_add_u32 dst:req, src0:req, src1:req, shiftCnt:req
    v_lshl_add_u32 \dst, \src0, \src1, \shiftCnt
.endm

.macro _v_lshl_or_b32 dst:req, src0:req, shiftCnt:req, src1:req
    v_lshl_or_b32 \dst, \src0, \shiftCnt, \src1
.endm

.macro _v_dot2acc_f32_f16 dst, src0, src1
v_dot2c_f32_f16 \dst, \src0, \src1
.endm

.macro _v_cmpx_lt_i16 dst, src0, src1=
   v_cmpx_lt_i16 \dst, \src0, \src1 
.endm

.macro _v_cmpx_lt_i32 dst, src0, src1=
   v_cmpx_lt_i32 \dst, \src0, \src1 
.endm

.macro _v_cmpx_lt_i64 dst, src0, src1=
   v_cmpx_lt_i64 \dst, \src0, \src1 
.endm

.macro _v_cmpx_lt_u16 dst, src0, src1=
   v_cmpx_lt_u16 \dst, \src0, \src1 
.endm

.macro _v_cmpx_lt_u32 dst, src0, src1=
   v_cmpx_lt_u32 \dst, \src0, \src1 
.endm

.macro _v_cmpx_lt_u64 dst, src0, src1=
   v_cmpx_lt_u64 \dst, \src0, \src1 
.endm

.macro _v_cmpx_eq_i16 dst, src0, src1=
   v_cmpx_eq_i16 \dst, \src0, \src1 
.endm

.macro _v_cmpx_eq_i32 dst, src0, src1=
   v_cmpx_eq_i32 \dst, \src0, \src1 
.endm

.macro _v_cmpx_eq_i64 dst, src0, src1=
   v_cmpx_eq_i64 \dst, \src0, \src1 
.endm

.macro _v_cmpx_eq_u16 dst, src0, src1=
   v_cmpx_eq_u16 \dst, \src0, \src1 
.endm

.macro _v_cmpx_eq_u32 dst, src0, src1=
   v_cmpx_eq_u32 \dst, \src0, \src1 
.endm

.macro _v_cmpx_eq_u64 dst, src0, src1=
   v_cmpx_eq_u64 \dst, \src0, \src1 
.endm

.macro _v_cmpx_le_i16 dst, src0, src1=
   v_cmpx_le_i16 \dst, \src0, \src1 
.endm

.macro _v_cmpx_le_i32 dst, src0, src1=
   v_cmpx_le_i32 \dst, \src0, \src1 
.endm

.macro _v_cmpx_le_i64 dst, src0, src1=
   v_cmpx_le_i64 \dst, \src0, \src1 
.endm

.macro _v_cmpx_le_u16 dst, src0, src1=
   v_cmpx_le_u16 \dst, \src0, \src1 
.endm

.macro _v_cmpx_le_u32 dst, src0, src1=
   v_cmpx_le_u32 \dst, \src0, \src1 
.endm

.macro _v_cmpx_le_u64 dst, src0, src1=
   v_cmpx_le_u64 \dst, \src0, \src1 
.endm

.macro _v_cmpx_gt_i16 dst, src0, src1=
   v_cmpx_gt_i16 \dst, \src0, \src1 
.endm

.macro _v_cmpx_gt_i32 dst, src0, src1=
   v_cmpx_gt_i32 \dst, \src0, \src1 
.endm

.macro _v_cmpx_gt_i64 dst, src0, src1=
   v_cmpx_gt_i64 \dst, \src0, \src1 
.endm

.macro _v_cmpx_gt_u16 dst, src0, src1=
   v_cmpx_gt_u16 \dst, \src0, \src1 
.endm

.macro _v_cmpx_gt_u32 dst, src0, src1=
   v_cmpx_gt_u32 \dst, \src0, \src1 
.endm

.macro _v_cmpx_gt_u64 dst, src0, src1=
   v_cmpx_gt_u64 \dst, \src0, \src1 
.endm

.macro _v_cmpx_ne_i16 dst, src0, src1=
   v_cmpx_ne_i16 \dst, \src0, \src1 
.endm

.macro _v_cmpx_ne_i32 dst, src0, src1=
   v_cmpx_ne_i32 \dst, \src0, \src1 
.endm

.macro _v_cmpx_ne_i64 dst, src0, src1=
   v_cmpx_ne_i64 \dst, \src0, \src1 
.endm

.macro _v_cmpx_ne_u16 dst, src0, src1=
   v_cmpx_ne_u16 \dst, \src0, \src1 
.endm

.macro _v_cmpx_ne_u32 dst, src0, src1=
   v_cmpx_ne_u32 \dst, \src0, \src1 
.endm

.macro _v_cmpx_ne_u64 dst, src0, src1=
   v_cmpx_ne_u64 \dst, \src0, \src1 
.endm

.macro _v_cmpx_lg_i16 dst, src0, src1=
   v_cmpx_lg_i16 \dst, \src0, \src1 
.endm

.macro _v_cmpx_lg_i32 dst, src0, src1=
   v_cmpx_lg_i32 \dst, \src0, \src1 
.endm

.macro _v_cmpx_lg_i64 dst, src0, src1=
   v_cmpx_lg_i64 \dst, \src0, \src1 
.endm

.macro _v_cmpx_lg_u16 dst, src0, src1=
   v_cmpx_lg_u16 \dst, \src0, \src1 
.endm

.macro _v_cmpx_lg_u32 dst, src0, src1=
   v_cmpx_lg_u32 \dst, \src0, \src1 
.endm

.macro _v_cmpx_lg_u64 dst, src0, src1=
   v_cmpx_lg_u64 \dst, \src0, \src1 
.endm

.macro _v_cmpx_ge_i16 dst, src0, src1=
   v_cmpx_ge_i16 \dst, \src0, \src1 
.endm

.macro _v_cmpx_ge_i32 dst, src0, src1=
   v_cmpx_ge_i32 \dst, \src0, \src1 
.endm

.macro _v_cmpx_ge_i64 dst, src0, src1=
   v_cmpx_ge_i64 \dst, \src0, \src1 
.endm

.macro _v_cmpx_ge_u16 dst, src0, src1=
   v_cmpx_ge_u16 \dst, \src0, \src1 
.endm

.macro _v_cmpx_ge_u32 dst, src0, src1=
   v_cmpx_ge_u32 \dst, \src0, \src1 
.endm

.macro _v_cmpx_ge_u64 dst, src0, src1=
   v_cmpx_ge_u64 \dst, \src0, \src1 
.endm

.macro _v_cmpx_o_i16 dst, src0, src1=
   v_cmpx_o_i16 \dst, \src0, \src1 
.endm

.macro _v_cmpx_o_i32 dst, src0, src1=
   v_cmpx_o_i32 \dst, \src0, \src1 
.endm

.macro _v_cmpx_o_i64 dst, src0, src1=
   v_cmpx_o_i64 \dst, \src0, \src1 
.endm

.macro _v_cmpx_o_u16 dst, src0, src1=
   v_cmpx_o_u16 \dst, \src0, \src1 
.endm

.macro _v_cmpx_o_u32 dst, src0, src1=
   v_cmpx_o_u32 \dst, \src0, \src1 
.endm

.macro _v_cmpx_o_u64 dst, src0, src1=
   v_cmpx_o_u64 \dst, \src0, \src1 
.endm

.macro _v_cmpx_u_i16 dst, src0, src1=
   v_cmpx_u_i16 \dst, \src0, \src1 
.endm

.macro _v_cmpx_u_i32 dst, src0, src1=
   v_cmpx_u_i32 \dst, \src0, \src1 
.endm

.macro _v_cmpx_u_i64 dst, src0, src1=
   v_cmpx_u_i64 \dst, \src0, \src1 
.endm

.macro _v_cmpx_u_u16 dst, src0, src1=
   v_cmpx_u_u16 \dst, \src0, \src1 
.endm

.macro _v_cmpx_u_u32 dst, src0, src1=
   v_cmpx_u_u32 \dst, \src0, \src1 
.endm

.macro _v_cmpx_u_u64 dst, src0, src1=
   v_cmpx_u_u64 \dst, \src0, \src1 
.endm
.macro _v_mac_f32 c:req, a:req, b:req
    v_mac_f32 \c, \a, \b
.endmacro

/* scale global load macros */
.macro _s_load_b32 dst base offset
    s_load_dword \dst \base \offset
.endm

.macro _s_load_b64 dst base offset
    s_load_dwordx2 \dst \base \offset
.endm

.macro _s_load_b128 dst base offset
    s_load_dwordx4 \dst \base \offset
.endm

.macro _s_load_b256 dst base offset
    s_load_dwordx8 \dst \base \offset
.endm

.macro _s_load_b512 dst base offset
    s_load_dwordx16 \dst \base \offset
.endm


/* ds operation macros */
.macro _ds_load_u8 dst src offset
    ds_read_u8 \dst \src \offset
.endm

.macro _ds_load_u8_d16_hi dst src offset
    ds_read_u8_d16_hi \dst \src \offset
.endm

.macro _ds_load_u16 dst src offset
    ds_read_u16 \dst \src \offset
.endm

.macro _ds_load_u16_d16_hi dst src offset
    ds_read_u16_d16_hi \dst \src \offset
.endm

.macro _ds_load_b32 dst src offset
    ds_read_b32 \dst \src \offset
.endm

.macro _ds_load_b64 dst src offset
    ds_read_b64 \dst \src \offset
.endm

.macro _ds_load_b128 dst src offset
    ds_read_b128 \dst \src \offset
.endm

.macro _ds_store_b8 dst src offset
    ds_write_b8 \dst \src \offset
.endm

.macro _ds_store_b8_d16_hi dst src offset
    ds_write_b8_d16_hi \dst \src \offset
.endm

.macro _ds_store_b16 dst src offset
    ds_write_b16 \dst \src \offset
.endm

.macro _ds_store_b16_d16_hi dst src offset
    ds_write_b16_d16_hi \dst \src \offset
.endm

.macro _ds_store_b32 dst src offset
    ds_write_b32 \dst \src \offset
.endm

.macro _ds_store_b64 dst src offset
    ds_write_b64 \dst \src \offset
.endm

.macro _ds_store_b128 dst src offset
    ds_write_b128 \dst \src \offset
.endm

.macro _ds_load2_b32 dst src offset1 offset2
    ds_read2_b32 \dst \src \offset1 \offset2
.endm

.macro _ds_load2_b64 dst src offset1 offset2
    ds_read2_b64 \dst \src \offset1 \offset2
.endm

.macro _ds_store2_b32 dst src offset1 offset2
    ds_write2_b32 \dst \src \offset1 \offset2
.endm

.macro _ds_store2_b64 dst src offset1 offset2
    ds_write2_b64 \dst \src \offset1 \offset2
.endm


/* buffer memory operation macros */
.macro _buffer_load_b32 dst voffset base soffset offen ioffset md0 md1 md2
    buffer_load_dword \dst \voffset \base \soffset \offen \ioffset \md0 \md1 \md2
.endm

.macro _buffer_load_b64 dst voffset base soffset offen ioffset md0 md1 md2
    buffer_load_dwordx2 \dst \voffset \base \soffset \offen \ioffset \md0 \md1 \md2
.endm

.macro _buffer_load_b96 dst voffset base soffset offen ioffset md0 md1 md2
    buffer_load_dwordx3 \dst \voffset \base \soffset \offen \ioffset \md0 \md1 \md2
.endm

.macro _buffer_load_b128 dst voffset base soffset offen ioffset md0 md1 md2
    buffer_load_dwordx4 \dst \voffset \base \soffset \offen \ioffset \md0 \md1 \md2
.endm

.macro _buffer_load_d16_b16 dst voffset base soffset offen ioffset md0 md1 md2
    buffer_load_short_d16 \dst \voffset \base \soffset \offen \ioffset \md0 \md1 \md2
.endm

.macro _buffer_load_d16_hi_b16 dst voffset base soffset offen ioffset md0 md1 md2
    buffer_load_short_d16_hi \dst \voffset \base \soffset \offen \ioffset \md0 \md1 \md2
.endm

.macro _buffer_load_d16_u8 dst voffset base soffset offen ioffset md0 md1 md2
    buffer_load_ubyte_d16 \dst \voffset \base \soffset \offen \ioffset \md0 \md1 \md2
.endm

.macro _buffer_load_d16_hi_u8 dst voffset base soffset offen ioffset md0 md1 md2
    buffer_load_ubyte_d16_hi \dst \voffset \base \soffset \offen \ioffset \md0 \md1 \md2
.endm

.macro _buffer_load_u16 dst voffset base soffset offen ioffset md0 md1 md2
    buffer_load_ushort \dst \voffset \base \soffset \offen \ioffset \md0 \md1 \md2
.endm

.macro _buffer_load_b32_dtl voffset base soffset offen ioffset md0 md1 md2
    buffer_load_dword \voffset \base \soffset \offen \ioffset \md0 \md1 \md2
.endm

.macro _buffer_load_b64_dtl voffset base soffset offen ioffset md0 md1 md2
    buffer_load_dwordx2 \voffset \base \soffset \offen \ioffset \md0 \md1 \md2
.endm

.macro _buffer_load_b128_dtl voffset base soffset offen ioffset md0 md1 md2
    buffer_load_dwordx4 \voffset \base \soffset \offen \ioffset \md0 \md1 \md2
.endm

.macro _buffer_load_u16_dtl voffset base soffset offen ioffset md0 md1 md2
    buffer_load_ushort \voffset \base \soffset \offen \ioffset \md0 \md1 \md2
.endm

.macro _buffer_store_b32 src voffset base soffset offen ioffset md0 md1 md2
    buffer_store_dword \src \voffset \base \soffset \offen \ioffset \md0 \md1 \md2
.endm

.macro _buffer_store_b64 src voffset base soffset offen ioffset md0 md1 md2
    buffer_store_dwordx2 \src \voffset \base \soffset \offen \ioffset \md0 \md1 \md2
.endm

.macro _buffer_store_b96 src voffset base soffset offen ioffset md0 md1 md2
    buffer_store_dwordx3 \src \voffset \base \soffset \offen \ioffset \md0 \md1 \md2
.endm

.macro _buffer_store_b128 src voffset base soffset offen ioffset md0 md1 md2
    buffer_store_dwordx4 \src \voffset \base \soffset \offen \ioffset \md0 \md1 \md2
.endm

.macro _buffer_store_b16 src voffset base soffset offen ioffset md0 md1 md2
    buffer_store_short \src \voffset \base \soffset \offen \ioffset \md0 \md1 \md2
.endm

.macro _buffer_store_d16_hi_b16 src voffset base soffset offen ioffset md0 md1 md2
    buffer_store_short_d16_hi \src \voffset \base \soffset \offen \ioffset \md0 \md1 \md2
.endm

.macro _buffer_store_b8 src voffset base soffset offen ioffset md0 md1 md2
    buffer_store_byte \src \voffset \base \soffset \offen \ioffset \md0 \md1 \md2
.endm

.macro _buffer_store_d16_hi_b8 src voffset base soffset offen ioffset md0 md1 md2
    buffer_store_byte_d16_hi \src \voffset \base \soffset \offen \ioffset \md0 \md1 \md2
.endm

.macro _buffer_atomic_cmpswap_b32 dst voffset base soffset offen ioffset md0 md1 md2
    buffer_atomic_cmpswap \dst \voffset \base \soffset \offen \ioffset \md0 \md1 \md2
.endm

.macro _buffer_atomic_cmpswap_b64 dst voffset base soffset offen ioffset md0 md1 md2
    buffer_atomic_cmpswap_x2 \dst \voffset \base \soffset \offen \ioffset \md0 \md1 \md2
.endm


/* buffer memory operation macros */
.macro _global_load_b32 dst base src ioffset md0 md1 md2
    global_load_dword \dst \base \src \ioffset \md0 \md1 \md2
.endm

.macro _global_load_b64 dst base src ioffset md0 md1 md2
    global_load_dwordx2 \dst \base \src \ioffset \md0 \md1 \md2
.endm

.macro _global_load_b96 dst base src ioffset md0 md1 md2
    global_load_dwordx3 \dst \base \src \ioffset \md0 \md1 \md2
.endm

.macro _global_load_b128 dst base src ioffset md0 md1 md2
    global_load_dwordx4 \dst \base \src \ioffset \md0 \md1 \md2
.endm

.macro _global_load_d16_b16 dst base src ioffset md0 md1 md2
    global_load_short_d16 \dst \base \src \ioffset \md0 \md1 \md2
.endm

.macro _global_load_d16_hi_b16 dst base src ioffset md0 md1 md2
    global_load_short_d16_hi \dst \base \src \ioffset \md0 \md1 \md2
.endm

.macro _global_load_d16_u8 dst base src ioffset md0 md1 md2
    global_load_ubyte_d16 \dst \base \src \ioffset \md0 \md1 \md2
.endm

.macro _global_load_d16_hi_u8 dst base src ioffset md0 md1 md2
    global_load_ubyte_d16_hi \dst \base \src \ioffset \md0 \md1 \md2
.endm

.macro _global_load_u16 dst base src ioffset md0 md1 md2
    global_load_ushort \dst \base \src \ioffset \md0 \md1 \md2
.endm

.macro _global_store_b32 base src src2 md0 md1 md2
    global_store_dword \base \src \src2 \md0 \md1 \md2
.endm

.macro _global_store_b64 base src src2 md0 md1 md2
    global_store_dwordx2 \base \src \src2 \md0 \md1 \md2
.endm

.macro _global_store_b96 base src src2 md0 md1 md2
    global_store_dwordx3 \base \src \src2 \md0 \md1 \md2
.endm

.macro _global_store_b128 base src src2 md0 md1 md2
    global_store_dwordx4 \base \src \src2 \md0 \md1 \md2
.endm

.macro _global_store_d16_b16 base src src2 md0 md1 md2
    global_store_short \base \src \src2 \md0 \md1 \md2
.endm

.macro _global_store_d16_hi_b16 base src src2 md0 md1 md2
    global_store_short_d16_hi \base \src \src2 \md0 \md1 \md2
.endm

.macro _global_store_d16_u8 base src src2 md0 md1 md2
    global_store_ubyte_d16 \base \src \src2 \md0 \md1 \md2
.endm

.macro _global_store_d16_hi_u8 base src src2 md0 md1 md2
    global_store_ubyte_d16_hi \base \src \src2 \md0 \md1 \md2
.endm

.macro _global_store_u16 base src src2 md0 md1 md2
    global_store_ushort \base \src \src2 \md0 \md1 \md2
.endm

.macro _global_atomic_cmpswap_b32 tmp base data src ioffset md
    global_atomic_cmpswap \tmp \base \data \src \ioffset \md
.endm

.macro _global_atomic_cmpswap_b64 tmp base data src ioffset md
    global_atomic_cmpswap_x2 \tmp \base \data \src \ioffset \md
.endm


/******************************************/
/* Magic div and mod functions            */
/******************************************/
.macro V_MAGIC_DIV dstIdx:req, dividend:req, magicNumber:req, magicShift:req, magicA:req
    v_mul_hi_u32 v[\dstIdx+1], \dividend, \magicNumber
    v_mul_lo_u32 v[\dstIdx+0], \dividend, \magicA
    _v_add_u32 v[\dstIdx+0], v[\dstIdx+0], v[\dstIdx+1]
    v_lshrrev_b32 v[\dstIdx+0], \magicShift, v[\dstIdx+0]
.endm

/******************************************/
/* VGPR Assignments                       */
/******************************************/
/* ValuC range: [0-0), serializedStore enabled */
.set vgprValuC, 0
/* ValuA/B   Xn=PLR buffer idx,  In=InnerUnroll idx */
.set vgprValuA_X0_I0, 0
.set vgprValuA_X1_I0, 10
.set vgprValuA_X2_I0, 20
.set vgprValuA_X3_I0, 30
.set vgprG2LA, 60
.set vgprValuB_X0_I0, 40
.set vgprValuB_X1_I0, 42
.set vgprValuB_X2_I0, 44
.set vgprValuB_X3_I0, 46
.set vgprG2LB, 70
.set vgprLocalWriteAddrA, 48
.set vgprLocalWriteAddrB, 49
.set vgprGlobalReadOffsetA, 50
.set vgprGlobalReadOffsetB, 55
.set vgprLocalReadAddrA, 78
.set vgprLocalReadAddrB, 79
.set vgprSerial, 80
/* Num VGPR=256 */
/* Num AccVGPR=80 */

/******************************************/
/* SGPR Assignments                       */
/******************************************/
.set sgprKernArgAddress, 0 // (2)
.set sgprWorkGroup0, 2 // (1)
.set sgprWorkGroup1, 3 // (1)
.set sgprWorkGroup2, 4 // (1)
.set sgprLoopCounterL, 5 // (1)
.set sgprOrigLoopCounter, 6 // (1)
.set sgprSrdA, 8 // (4)
.set sgprSrdB, 12 // (4)
.set sgprSrdD, 16 // (4)
.set sgprSrdC, 20 // (4)
.set sgprTensor2dSizeA, 24 // (2)
.set sgprTensor2dSizeB, 26 // (2)
.set sgprAddressD, 28 // (2)
.set sgprAddressC, 30 // (2)
.set sgprAddressA, 32 // (2)
.set sgprAddressB, 34 // (2)
.set sgprAlpha, 36 // (1)
.set sgprBeta, 37 // (1)
.set sgprStridesD, 38 // (2)
.set sgprStridesC, 40 // (2)
.set sgprStridesA, 42 // (2)
.set sgprStridesB, 44 // (2)
.set sgprSizesFree, 46 // (3)
.set sgprSizesSum, 49 // (1)
.set sgprNumWorkGroups0, 50 // (1)
.set sgprNumWorkGroups1, 51 // (1)
.set sgprShadowLimitA, 0 // (2)
.set sgprShadowLimitB, 28 // (2)
.set sgprGlobalReadIncsA, 7 // (1)
.set sgprGlobalReadIncsB, 30 // (1)
/* max SGPR=58 */

/* Size Assignments */
.set sgprSizeI, sgprSizesFree+0
.set sgprSizeJ, sgprSizesFree+1
.set sgprSizeK, sgprSizesFree+2
.set sgprSizeL, sgprSizesSum+0

/* Stride Assignments */
.set constStrideD0I, 1
.set sgprStrideD1J, sgprStridesD+0
.set sgprStrideDK, sgprStridesD+1
.set constStrideC0I, 1
.set sgprStrideC1J, sgprStridesC+0
.set sgprStrideCK, sgprStridesC+1
.set constStrideA0I, 1
.set sgprStrideAL, sgprStridesA+0
.set sgprStrideAK, sgprStridesA+1
.set constStrideBL, 1
.set sgprStrideB1J, sgprStridesB+0
.set sgprStrideBK, sgprStridesB+1

.set MT0, 160
.set MT1, 128
.set DepthU, 32
.set GSU, 1
.set BpeA, 2
.set BpeALog2, 1
.set BpeB, 2
.set BpeBLog2, 1
/* Number of elements to shift-left SRD */
.set SrdShiftLeftA, 4
.set SrdShiftLeftB, 4
/* 2GB limit - set offsets to -1 to exceed this and clamp */
.set BufferLimitA, 0xffffffff
.set BufferLimitB, 0xffffffff
.set BufferOOB, 0xfffff000

/******************************************/
/* Bits 127:96 of SRD.                    */
/* hex: 0x00020000                        */
/* dst_sel_x (3b): 0                      */
/* dst_sel_y (3b): 0                      */
/* dst_sel_z (3b): 0                      */
/* dst_sel_w (3b): 0                      */
/* num_format (3b): 0                     */
/* data_format (4b): 4                    */
/* user_vm_enable (1b): 0                 */
/* user_vm_mode (1b): 0                   */
/* index_stride (2b): 0                   */
/* add_tid_enable (1b): 0                 */
/* _unusedA (3b): 0                       */
/* nv (1b): 0                             */
/* _unusedB (2b): 0                       */
/* type (2b): 0                           */
/******************************************/
.set Srd127_96, 0x00020000

/* Global Offset A */
.macro GLOBAL_OFFSET_A vgprAddr:req vgprOffset0I:req vgprOffsetL:req vgprTmp:req
v_mul_lo_u32 v[\vgprTmp+0], s[sgprStrideAL], v[\vgprOffsetL] // mul d1 lower
_v_add_co_u32 v[\vgprAddr+0], vcc, v[\vgprOffset0I], v[\vgprTmp+0] // accumulate K lower
_v_add_u32 v[\vgprAddr+0], 0x4, v[\vgprAddr+0]     // add prepad for pointer shift
v_lshlrev_b32 v[\vgprAddr+0], 0x1, v[\vgprAddr+0]  // offset *= bytes/element
.endm

/* Global Offset B */
.macro GLOBAL_OFFSET_B vgprAddr:req vgprOffsetL:req vgprOffset1J:req vgprTmp:req
v_mul_lo_u32 v[\vgprTmp+0], s[sgprStrideB1J], v[\vgprOffset1J] // mul d1 lower
_v_add_co_u32 v[\vgprAddr+0], vcc, v[\vgprOffsetL], v[\vgprTmp+0] // accumulate K lower
_v_add_u32 v[\vgprAddr+0], 0x4, v[\vgprAddr+0]     // add prepad for pointer shift
v_lshlrev_b32 v[\vgprAddr+0], 0x1, v[\vgprAddr+0]  // offset *= bytes/element
.endm

/******************************************/
/* Dynamic Scalar Divide: vQuotient=vDividend/vDivisor; vRemainder=vDividend%vDivisor; */
/******************************************/
.macro DYNAMIC_VECTOR_DIVIDE vQuotient vRemainder vDividend vDivisor vTmp0 vTmp1 sTmp
v_cvt_f32_u32 v[\vQuotient], v[\vDivisor]          // 
v_rcp_f32 v[\vQuotient], v[\vQuotient]             // 
v_mul_f32 v[\vQuotient], 0x4f800000, v[\vQuotient] // 
v_cvt_u32_f32 v[\vQuotient], v[\vQuotient]         // 
v_mul_lo_u32 v[\vRemainder], v[\vDivisor], v[\vQuotient] // 
v_mul_hi_u32 v[\vTmp0], v[\vDivisor], v[\vQuotient] // 
_v_sub_co_u32 v[\vTmp1], vcc, 0x0, v[\vRemainder]  // 
v_cmp_ne_i32 s[\sTmp:\sTmp+1], 0x0, v[\vTmp0]      // 
v_cndmask_b32 v[\vRemainder], v[\vTmp1], v[\vRemainder], s[\sTmp:\sTmp+1] // 
v_mul_hi_u32 v[\vRemainder], v[\vRemainder], v[\vQuotient] // 
_v_sub_co_u32 v[\vTmp0], vcc, v[\vQuotient], v[\vRemainder] // 
_v_add_co_u32 v[\vQuotient], vcc, v[\vQuotient], v[\vRemainder] // 
v_cndmask_b32 v[\vQuotient], v[\vQuotient], v[\vTmp0], s[\sTmp:\sTmp+1] // 
v_mul_hi_u32 v[\vQuotient], v[\vQuotient], v[\vDividend] // 
v_mul_lo_u32 v[\vRemainder], v[\vQuotient], v[\vDivisor] // 
_v_sub_co_u32 v[\vTmp0], vcc, v[\vDividend], v[\vRemainder] // 
v_cmp_ge_u32 s[\sTmp:\sTmp+1], v[\vDividend], v[\vRemainder] // 
_v_add_co_u32 v[\vRemainder], vcc, 0x1, v[\vQuotient] // 
_v_add_co_u32 v[\vTmp1], vcc, -1, v[\vQuotient]    // 
v_cmp_le_u32 vcc, v[\vDivisor], v[\vTmp0]          // 
s_and_b64 vcc, s[\sTmp:\sTmp+1], vcc               // 
v_cndmask_b32 v[\vQuotient], v[\vQuotient], v[\vRemainder], vcc // 
v_cndmask_b32 v[\vQuotient], v[\vTmp1], v[\vQuotient], s[\sTmp:\sTmp+1] // 
v_cmp_ne_i32 vcc, 0x0, v[\vDivisor]                // 
v_cndmask_b32 v[\vQuotient], -1, v[\vQuotient], vcc // final result
v_mul_lo_u32 v[\vRemainder], v[\vQuotient], v[\vDivisor] // 
_v_sub_co_u32 v[\vRemainder], vcc, v[\vDividend], v[\vRemainder] // final result
.endm


	;; [unrolled: 1-line block ×3, first 2 shown]
/******************************************/
/* Allocate Resources                     */
/******************************************/

Cijk_Ailk_Bljk_HHS_BH_MT160x128x32_MI32x32x8x1_SN_1LDSB0_APM1_AF0EM1_AF1EM1_AMAS0_ASE_ASAE01_ASCE01_ASEM1_BL1_DTLA0_DTLB0_DVO0_EPS0_FL0_GLVWA4_GLVWB4_GRVW4_GSU1_GSUASB_ISA908_IU1_K1_KLA_LBSPPA0_LBSPPB128_LPA0_LPB8_LDL1_LRVW8_LDW0_MAC_MDA2_MMFGLC_NTC0_NTD0_NEPBS0_NLCA5_NLCB1_ONLL1_OPLV0_PK0_PAP0_PGR2_PLR5_SIA3_SS0_SU0_SUM0_SUS0_SPO0_SRVW0_SSO0_SVW4_SNLL0_TT5_32_TLDS1_UMLDSA0_UMLDSB1_USFGROn1_VAW2_VSn1_VW1_VWB1_WSGRA1_WSGRB1_WG32_8_1_WGM1_preloaded: // Kernel start when preloading

/* Load Kernel Args */
_s_load_b512 s[24:39], s[sgprKernArgAddress:sgprKernArgAddress+1], 0x0 // 
_s_load_b256 s[40:47], s[sgprKernArgAddress:sgprKernArgAddress+1], 0x40 // 
_s_load_b128 s[48:51], s[sgprKernArgAddress:sgprKernArgAddress+1], 0x60 // 
s_mov_b32 m0, 0xcc00                               // LDS clamp at 52224 bytes
v_mov_b32 v[vgprSerial], v0                        // thread serial id

/******************************************/
/* Local Read Addresses                   */
/******************************************/


/* local read addresses: tile assignments a/b */

/*lr0I*/
v_and_b32 v1, 63, v[vgprSerial]                    // 0. thread id in wave: wtid = tid % wavelength(64)
v_and_b32 v0, 31, v1                               // 1. N offset: nIdx = wtid % MI_N(32)
                                                   // 1. N offset: nOffset = nIdx * nStride(1) (multiplier is 1, do nothing)
                                                   // 2. block offset: bnIdx = bnIdx % num1DBlocks(1) is 0. do nothing
                                                   // 4. apply VectorWidth: bnOffset = bnOffset * vw(1) (multiplier is 1, do nothing)
v_lshrrev_b32 v1, 5, v1                            // 5. K offset: kIdx = wtid / (MIN(32) * MIBB(1))
s_mov_b32 s7, 0x500                                // 5. K offset: lrKOffset = kIdx * mStride(1280)
v_mul_lo_u32 v1, s7, v1                            // 5. K offset: lrKOffset = kIdx * mStride(1280)
_v_add_u32 v0, v1, v0                              // 6. offset in wave: lrOffset = bnOffset + lrKOffset
/*lr1J*/
v_and_b32 v2, 63, v[vgprSerial]                    // 0. thread id in wave: wtid = tid % wavelength(64)
v_and_b32 v1, 31, v2                               // 1. N offset: nIdx = wtid % MI_N(32)
v_lshlrev_b32 v1, 0x5, v1                          // 1. N offset: nOffset = nIdx * nStride(32)
                                                   // 2. block offset: bnIdx = bnIdx % num1DBlocks(1) is 0. do nothing
                                                   // 4. apply VectorWidth: bnOffset = bnOffset * vw(1) (multiplier is 1, do nothing)
v_lshrrev_b32 v2, 5, v2                            // 5. K offset: kIdx = wtid / (MIN(32) * MIBB(1))
v_lshlrev_b32 v2, 0x3, v2                          // 5. K offset: lrKOffset = kIdx * mStride(8)
_v_add_u32 v1, v2, v1                              // 6. offset in wave: lrOffset = bnOffset + lrKOffset
v_lshrrev_b32 v3, 6, v[vgprSerial]                 // 7. wave offset in N dimen: wtid = tid / dividedForWaveId(64)
v_and_b32 v2, 3, v3                                // 7. wave offset in M dimen: wtid0 = wtid / num1DWaves(4)
v_lshlrev_b32 v2, 0xa, v2                          // 7. wave offset in M dimen: wOffset = wtid0 * W0Stride(1024)
_v_add_u32 v1, v2, v1                              // 8. final local read offset: flrOffset = lrOffset + WOffset


/* local read addresses: final offsets a */

v_lshlrev_b32 v[vgprLocalReadAddrA], 0x1, v0       // Final Offset: offset = (lro0)*bpe


/* local read addresses: final offsets b */

v_lshlrev_b32 v[vgprLocalReadAddrB], 0x1, v1       // Final Offset: offset = (lro1)*bpe
v_lshrrev_b32 v0, 7, v[vgprLocalReadAddrB]         // Final Offset: padding 8 per block 128
v_lshlrev_b32 v0, 0x4, v0                          // Final Offset: padding 8 per block 128
_v_add_u32 v[vgprLocalReadAddrB], v0, v[vgprLocalReadAddrB] // Final Offset: add padding 8 per block 128


/* local read addresses: declare addresses a */

/* N/A */


/* local read addresses: declare addresses b */

_v_add_co_u32 v[vgprLocalReadAddrB+0], vcc, 0x2800, v[vgprLocalReadAddrB+0] //  += LdsOffsetB (lower)


/* global read addresses: tile offset assignment a */

/* LVCA = 8 */
/* v0 = (local)groA-tile = serial%LVCA (note (wgA*MTA) will be added to SRD) */
/* v1 = groA-unroll = serial/LVCA */
v_and_b32 v2, 63, v[vgprSerial]                    // v2 = v[vgprSerial] % 64
v_lshrrev_b32 v1, 3, v2                            // v1 = v2 / 8
v_and_b32 v0, 7, v2                                // v0 = v2 % 8
v_readfirstlane_b32 s52, v[vgprSerial]             // WaveIdxWavefrontWidth
s_lshr_b32 s52, s52, 0x6                           // WaveId
s_mul_i32 s52, s52, 8                              // Global Read Wave: each wave loads continuous lsp(8)*nrp(1) columns
_v_add_u32 v1, s52, v1                             // Global Read Wave: add back to column index
/* gro-tile *= glvw */
v_lshlrev_b32 v0, 0x2, v0                          // v0 = v0 * 4


/* global read addresses: tile offset assignment b */

/* LVCB = 8 */
/* v2 = (local)groB-tile = serial/LVCB (note (wgB*MTB) will be added to SRD) */
/* v3 = groB-unroll = serial%LVCB */
v_and_b32 v4, 63, v[vgprSerial]                    // v4 = v[vgprSerial] % 64
v_lshrrev_b32 v2, 3, v4                            // v2 = v4 / 8
v_and_b32 v3, 7, v4                                // v3 = v4 % 8
v_readfirstlane_b32 s52, v[vgprSerial]             // WaveIdxWavefrontWidth
s_lshr_b32 s52, s52, 0x6                           // WaveId
s_mul_i32 s52, s52, 32                             // Global Read Wave: each wave loads continuous lsp(8)*nrp(4) columns
_v_add_u32 v2, s52, v2                             // Global Read Wave: add back to column index
/* gro-unroll *= glvw */
v_lshlrev_b32 v3, 0x2, v3                          // v3 = v3 * 4


/******************************************/
/* Local Write Addresses                  */
/******************************************/

/* lwaTileAssignmentA = v0 */

/* lwaTileAssignmentB = v2 */

/* lwaUnrollAssignmentA = v1 */

/* lwaUnrollAssignmentB = v3 */


/* local write addresses: first offset a */

v_mul_u32_u24 v[vgprLocalWriteAddrA], 0xa0, v1     // lwAL**(MTA + PAD)
_v_add_lshl_u32 v[vgprLocalWriteAddrA], v0, v[vgprLocalWriteAddrA], 0x1 // lwFOA = (lwAA + lwAL*(MT0I+PAD))*bpe


/* local write addresses: first offset b */

v_mul_u32_u24 v[vgprLocalWriteAddrB], 0x20, v2     // lwBL**(DepthU_Compute + PAD)
_v_add_lshl_u32 v[vgprLocalWriteAddrB], v3, v[vgprLocalWriteAddrB], 0x1 // lwFOB = (lwBB + lwBL*(DepthU+PAD))*bpe
v_lshrrev_b32 v4, 7, v[vgprLocalWriteAddrB]        // padding 8 per block 128
v_lshlrev_b32 v4, 0x4, v4                          // padding 8 per block 128
_v_add_u32 v[vgprLocalWriteAddrB], v4, v[vgprLocalWriteAddrB] // add padding 8 per block 128
_v_add_co_u32 v[vgprLocalWriteAddrB], vcc, 0x2800, v[vgprLocalWriteAddrB] // lwFOB = lwB1J + lwBL*MT1J + LDS_OFFSET_B=5120*2


	;; [unrolled: 1-line block ×7, first 2 shown]
s_waitcnt lgkmcnt(0)                               // wait for 112 bytes of kern args
s_mov_b64 s[sgprSrdC+0:sgprSrdC+0+1], s[sgprAddressC+0:sgprAddressC+0+1] // copy addressC
s_mov_b64 s[sgprSrdD+0:sgprSrdD+0+1], s[sgprAddressD+0:sgprAddressD+0+1] // copy addressD
s_sub_u32 s[sgprSrdA+0], s[sgprAddressA+0], 8      // pre-pad to make room for possible pointer shift
s_subb_u32 s[sgprSrdA+1], s[sgprAddressA+1], 0     // pre-pad to make room for possible pointer shift
s_sub_u32 s[sgprSrdB+0], s[sgprAddressB+0], 8      // pre-pad to make room for possible pointer shift
s_subb_u32 s[sgprSrdB+1], s[sgprAddressB+1], 0     // pre-pad to make room for possible pointer shift

.set AddressD, UNDEF
.set AddressC, UNDEF
.set AddressA, UNDEF
.set AddressB, UNDEF

/* Short circuit condition if Alpha == 0, then sumDims=0 */
v_cmp_eq_f32 vcc, s[sgprAlpha], 0.0                // Alpha == 0.0f ?
s_cbranch_vccz label_AlphaNonZero                  // branch if alpha != 0
s_mov_b32 s[sgprSizesSum+0], 0x0                   // Set summation dim=0 if Alpha == 0
label_AlphaNonZero:


	;; [unrolled: 1-line block ×3, first 2 shown]
/******************************************/
/* Begin setupNewTile, isPap=False           */
/******************************************/


/* global read addresses: work-group */

/* graWorkGroup mapping */


/* global read addresses: unroll assignment a */

/* v1 */


/* global read addresses: unroll assignment b */

/* v3 */


/* global read addresses: other free assignments */

/* s[sgprWorkGroup2] */


/* global read addresses: tile offsets a */

v_mov_b32 v4, v0                                   // groA0I_0
_v_add_co_u32 v5, vcc, 32, v4                      // groA0I_1 += LSCA
_v_add_co_u32 v6, vcc, 32, v5                      // groA0I_2 += LSCA
_v_add_co_u32 v7, vcc, 32, v6                      // groA0I_3 += LSCA
_v_add_co_u32 v8, vcc, 32, v7                      // groA0I_4 += LSCA


/* global read addresses: tile offsets b */

v_mov_b32 v9, v2                                   // groB1J_0
_v_add_co_u32 v10, vcc, 8, v9                      // groB1J_1 += LSPB
_v_add_co_u32 v11, vcc, 8, v10                     // groB1J_2 += LSPB
_v_add_co_u32 v12, vcc, 8, v11                     // groB1J_3 += LSPB


/* global read addresses: unroll offsets a */

v_mov_b32 v13, v1                                  // groAL_0


/* global read addresses: unroll offsets b */

v_mov_b32 v14, v3                                  // groBL_0


/* global read addresses: shift a */

s_mul_i32 s31, s[sgprWorkGroup0], 160              // WorkGroup[01] * MT
s_sub_u32 s31, s[sgprSizeI], s31                   // edge = Size0I - WG*MT
s_sub_u32 s31, s31, 4                              // edge -= margin(4)
v_mov_b32 v15, s31                                 // edge vgpr = Size0I- WG*MT - margin(4)
v_min_i32 v4, v15, v4                              // offset = (offset < edge) ? offset(v4) : edge(v15)
v_min_i32 v5, v15, v5                              // offset = (offset < edge) ? offset(v5) : edge(v15)
	;; [unrolled: 1-line block ×5, first 2 shown]


/* global read addresses: final offsets a */

GLOBAL_OFFSET_A vgprGlobalReadOffsetA+0,  4, 13, 15 // gROA_0_0_0_0
GLOBAL_OFFSET_A vgprGlobalReadOffsetA+1,  5, 13, 15 // gROA_1_0_0_0
GLOBAL_OFFSET_A vgprGlobalReadOffsetA+2,  6, 13, 15 // gROA_2_0_0_0
GLOBAL_OFFSET_A vgprGlobalReadOffsetA+3,  7, 13, 15 // gROA_3_0_0_0
GLOBAL_OFFSET_A vgprGlobalReadOffsetA+4,  8, 13, 15 // gROA_4_0_0_0


/* global read addresses: final offsets b */

GLOBAL_OFFSET_B vgprGlobalReadOffsetB+0, 14,  9, 4 // gROB_0_0_0_0
GLOBAL_OFFSET_B vgprGlobalReadOffsetB+1, 14, 10, 4 // gROB_0_0_1_0
GLOBAL_OFFSET_B vgprGlobalReadOffsetB+2, 14, 11, 4 // gROB_0_0_2_0
GLOBAL_OFFSET_B vgprGlobalReadOffsetB+3, 14, 12, 4 // gROB_0_0_3_0


/* global read addresses: addresses a */

/* max read offset = size[n] * stride[n-1] */
s_mul_hi_u32 s35, s[sgprWorkGroup0], 160           // WorkGroup[01] * MT
s_mul_i32 s34, s[sgprWorkGroup0], 160              // WorkGroup[01] * MT
s_sub_u32 s[sgprShadowLimitA+0], s[sgprTensor2dSizeA], s34 // sub tileStart
s_subb_u32 s[sgprShadowLimitA+1], s[sgprTensor2dSizeA+1], s35 // sub tileStart
s_lshl_b64 s[sgprShadowLimitA:sgprShadowLimitA+1], s[sgprShadowLimitA:sgprShadowLimitA+1], 0x1 // Set limit to use bytes
s_add_u32 s[sgprShadowLimitA+0], s[sgprShadowLimitA+0], 8 // extend limit for pre-pad
s_addc_u32 s[sgprShadowLimitA+1], s[sgprShadowLimitA+1], 0 // extend limit for pre-pad
s_cmp_eq_u32 s[sgprShadowLimitA+1], 0              // are we within 2^32?
s_cselect_b32 s[sgprSrdA+2], s[sgprShadowLimitA+0], BufferLimitA // Move shadow to real if we are within 2^32
s_mul_hi_u32 s33, s[sgprStrideAK], s[sgprWorkGroup2] // Stride*WG
s_mul_i32 s32, s[sgprStrideAK], s[sgprWorkGroup2]  // Stride*WG
s_add_u32 s34, s34, s32                            // accum wg term to tilestart
s_addc_u32 s35, s35, s33                           // accum wg term to tilestart
s_lshl_b64 s[34:35], s[34:35], 0x1                 // tileStart *= BPE
s_add_u32 s[sgprSrdA+0], s[sgprSrdA+0], s34        // SRD base = Address+ tileStart0
s_addc_u32 s[sgprSrdA+1], s[sgprSrdA+1], s35       // SRD base = Address+ tileStart1
s_mov_b32 s[sgprSrdA+3], Srd127_96                 // Set bits 127_96 in SRD


/* global read addresses: addresses b */

/* max read offset = size[n] * stride[n-1] */
s_mul_hi_u32 s35, s[sgprWorkGroup1], 128           // WorkGroup[01] * MT
s_mul_i32 s34, s[sgprWorkGroup1], 128              // WorkGroup[01] * MT
s_mul_hi_u32 s35, s34, s[sgprStrideB1J]            // tlu=0, scaled tile-offset by stride
s_mul_i32 s34, s34, s[sgprStrideB1J]               // tlu=0, scaled tile-offset by stride
s_sub_u32 s[sgprShadowLimitB+0], s[sgprTensor2dSizeB], s34 // sub tileStart
s_subb_u32 s[sgprShadowLimitB+1], s[sgprTensor2dSizeB+1], s35 // sub tileStart
s_lshl_b64 s[sgprShadowLimitB:sgprShadowLimitB+1], s[sgprShadowLimitB:sgprShadowLimitB+1], 0x1 // Set limit to use bytes
s_add_u32 s[sgprShadowLimitB+0], s[sgprShadowLimitB+0], 8 // extend limit for pre-pad
s_addc_u32 s[sgprShadowLimitB+1], s[sgprShadowLimitB+1], 0 // extend limit for pre-pad
s_cmp_eq_u32 s[sgprShadowLimitB+1], 0              // are we within 2^32?
s_cselect_b32 s[sgprSrdB+2], s[sgprShadowLimitB+0], BufferLimitB // Move shadow to real if we are within 2^32
s_mul_hi_u32 s33, s[sgprStrideBK], s[sgprWorkGroup2] // Stride*WG
s_mul_i32 s32, s[sgprStrideBK], s[sgprWorkGroup2]  // Stride*WG
s_add_u32 s34, s34, s32                            // accum wg term to tilestart
s_addc_u32 s35, s35, s33                           // accum wg term to tilestart
s_lshl_b64 s[34:35], s[34:35], 0x1                 // tileStart *= BPE
s_add_u32 s[sgprSrdB+0], s[sgprSrdB+0], s34        // SRD base = Address+ tileStart0
s_addc_u32 s[sgprSrdB+1], s[sgprSrdB+1], s35       // SRD base = Address+ tileStart1
s_mov_b32 s[sgprSrdB+3], Srd127_96                 // Set bits 127_96 in SRD


/* global read addresses: increments a */

s_mul_i32 s[sgprGlobalReadIncsA+0], DepthU*BpeA, s[sgprStrideAL] // incrA unrollIdx)


/* global read addresses: increments b */

s_mov_b32 s[sgprGlobalReadIncsB+0], DepthU*BpeB    // incrB (unrollIdx)

/* declare loop num iterations */


s_lshr_b32 s[sgprLoopCounterL], s[sgprSizesSum+0], 5 // s[sgprLoopCounterL] = s[sgprSizesSum+0] / 32
s_mov_b32 s[sgprOrigLoopCounter], s[sgprLoopCounterL] // copy loop counter

/* local read addresses: init pointers a */


/* localReadInitPointers */

/* local read addresses: init pointers b */


/* localReadInitPointers */


/* prefetch: global -> local */

s_cmp_eq_u32 s[sgprLoopCounterL], 0                // at last iteration?
s_cbranch_scc1 ShadowInitStart_10                  // skip to ShadowInitStart iter b/c numIter==0


_buffer_load_b64 v[vgprG2LA+0:vgprG2LA+0+1], v[vgprGlobalReadOffsetA+0], s[sgprSrdA:sgprSrdA+3], 0, offen offset:0 // G -> Reg 0_0_0_0
_buffer_load_b64 v[vgprG2LA+2:vgprG2LA+2+1], v[vgprGlobalReadOffsetA+1], s[sgprSrdA:sgprSrdA+3], 0, offen offset:0 // G -> Reg 1_0_0_0
_buffer_load_b64 v[vgprG2LA+4:vgprG2LA+4+1], v[vgprGlobalReadOffsetA+2], s[sgprSrdA:sgprSrdA+3], 0, offen offset:0 // G -> Reg 2_0_0_0
_buffer_load_b64 v[vgprG2LA+6:vgprG2LA+6+1], v[vgprGlobalReadOffsetA+3], s[sgprSrdA:sgprSrdA+3], 0, offen offset:0 // G -> Reg 3_0_0_0
_buffer_load_b64 v[vgprG2LA+8:vgprG2LA+8+1], v[vgprGlobalReadOffsetA+4], s[sgprSrdA:sgprSrdA+3], 0, offen offset:0 // G -> Reg 4_0_0_0


_buffer_load_b64 v[vgprG2LB+0:vgprG2LB+0+1], v[vgprGlobalReadOffsetB+0], s[sgprSrdB:sgprSrdB+3], 0, offen offset:0 // G -> Reg 0_0_0_0
_buffer_load_b64 v[vgprG2LB+2:vgprG2LB+2+1], v[vgprGlobalReadOffsetB+1], s[sgprSrdB:sgprSrdB+3], 0, offen offset:0 // G -> Reg 0_0_1_0
_buffer_load_b64 v[vgprG2LB+4:vgprG2LB+4+1], v[vgprGlobalReadOffsetB+2], s[sgprSrdB:sgprSrdB+3], 0, offen offset:0 // G -> Reg 0_0_2_0
_buffer_load_b64 v[vgprG2LB+6:vgprG2LB+6+1], v[vgprGlobalReadOffsetB+3], s[sgprSrdB:sgprSrdB+3], 0, offen offset:0 // G -> Reg 0_0_3_0


/* global read inc A loopL */
s_add_u32 s[sgprSrdA+0], s[sgprSrdA+0], s[sgprGlobalReadIncsA+0] // gra SRD += inc(lower)
s_addc_u32  s[sgprSrdA+1], s[sgprSrdA+1], 0        // gra SRD += inc(upper)
s_sub_u32 s[sgprShadowLimitA+0], s[sgprShadowLimitA+0], s[sgprGlobalReadIncsA+0] // limit -= inc)
s_subb_u32 s[sgprShadowLimitA+1], s[sgprShadowLimitA+1], 0 // limit -= inc)
s_cmp_eq_u32 s[sgprShadowLimitA+1], 0              // are we within 2^32?
s_cmov_b32 s[sgprSrdA+2], s[sgprShadowLimitA+0]    // Move shadow to real if we are within 2^32

/* global read inc B loopL */
s_add_u32 s[sgprSrdB+0], s[sgprSrdB+0], s[sgprGlobalReadIncsB+0] // gra SRD += inc(lower)
s_addc_u32  s[sgprSrdB+1], s[sgprSrdB+1], 0        // gra SRD += inc(upper)
s_sub_u32 s[sgprShadowLimitB+0], s[sgprShadowLimitB+0], s[sgprGlobalReadIncsB+0] // limit -= inc)
s_subb_u32 s[sgprShadowLimitB+1], s[sgprShadowLimitB+1], 0 // limit -= inc)
s_cmp_eq_u32 s[sgprShadowLimitB+1], 0              // are we within 2^32?
s_cmov_b32 s[sgprSrdB+2], s[sgprShadowLimitB+0]    // Move shadow to real if we are within 2^32


/******************************************/
/* End setupNewTile, isPap=False             */
/******************************************/

ShadowInitStart_10: // 

s_mov_b32 s[sgprSrdD+2], BufferOOB                 // 
s_mov_b32 s[sgprSrdD+3], Srd127_96                 // Set bits 127_96 in post-loop SRD

s_mov_b32 s[sgprSrdC+2], BufferOOB                 // 
s_mov_b32 s[sgprSrdC+3], Srd127_96                 // Set bits 127_96 in post-loop SRD


s_mul_i32 s34, MT1, s[sgprWorkGroup1]              // <- wg1*MT1
s_mul_hi_u32 s33, s34, s[sgprStrideC1J]            // CScale s34 by Stride
s_mul_i32 s32, s34, s[sgprStrideC1J]               // CScale s34 by Stride
s_lshl_b64 s[32:33], s[32:33], 1                   // scale by bpe
s_add_u32 s[sgprSrdC+0], s[sgprSrdC+0], s32        // add lo to SRD
s_addc_u32 s[sgprSrdC+1], s[sgprSrdC+1], s33       // add hi to SRD
s_mul_hi_u32 s33, s34, s[sgprStrideD1J]            // Scale s34 by Stride
s_mul_i32 s32, s34, s[sgprStrideD1J]               // Scale s34 by Stride
s_lshl_b64 s[32:33], s[32:33], 1                   // scale by bpe
s_add_u32 s[sgprSrdD+0], s[sgprSrdD+0], s32        // add lo to SRD
s_addc_u32 s[sgprSrdD+1], s[sgprSrdD+1], s33       // add hi to SRD

s_mul_hi_u32 s33, s[sgprWorkGroup2], s[sgprStrideCK] // CScale s[sgprWorkGroup2] by Stride
s_mul_i32 s32, s[sgprWorkGroup2], s[sgprStrideCK]  // CScale s[sgprWorkGroup2] by Stride
s_lshl_b64 s[32:33], s[32:33], 1                   // scale by bpe
s_add_u32 s[sgprSrdC+0], s[sgprSrdC+0], s32        // add lo to SRD
s_addc_u32 s[sgprSrdC+1], s[sgprSrdC+1], s33       // add hi to SRD
s_mul_hi_u32 s33, s[sgprWorkGroup2], s[sgprStrideDK] // Scale s[sgprWorkGroup2] by Stride
s_mul_i32 s32, s[sgprWorkGroup2], s[sgprStrideDK]  // Scale s[sgprWorkGroup2] by Stride
s_lshl_b64 s[32:33], s[32:33], 1                   // scale by bpe
s_add_u32 s[sgprSrdD+0], s[sgprSrdD+0], s32        // add lo to SRD
s_addc_u32 s[sgprSrdD+1], s[sgprSrdD+1], s33       // add hi to SRD


	;; [unrolled: 1-line block ×3, first 2 shown]
/* initC: remove C-tile 0-0 from pool */

/* initC: remove AB-tile 0-48 from pool */
v_accvgpr_write acc0, 0x0                          // initC
v_accvgpr_write acc1, 0x0                          // initC
v_accvgpr_write acc2, 0x0                          // initC
v_accvgpr_write acc3, 0x0                          // initC
v_accvgpr_write acc4, 0x0                          // initC
v_accvgpr_write acc5, 0x0                          // initC
v_accvgpr_write acc6, 0x0                          // initC
v_accvgpr_write acc7, 0x0                          // initC
v_accvgpr_write acc8, 0x0                          // initC
v_accvgpr_write acc9, 0x0                          // initC
v_accvgpr_write acc10, 0x0                         // initC
v_accvgpr_write acc11, 0x0                         // initC
v_accvgpr_write acc12, 0x0                         // initC
v_accvgpr_write acc13, 0x0                         // initC
v_accvgpr_write acc14, 0x0                         // initC
v_accvgpr_write acc15, 0x0                         // initC
v_accvgpr_write acc16, 0x0                         // initC
v_accvgpr_write acc17, 0x0                         // initC
v_accvgpr_write acc18, 0x0                         // initC
v_accvgpr_write acc19, 0x0                         // initC
v_accvgpr_write acc20, 0x0                         // initC
v_accvgpr_write acc21, 0x0                         // initC
v_accvgpr_write acc22, 0x0                         // initC
v_accvgpr_write acc23, 0x0                         // initC
v_accvgpr_write acc24, 0x0                         // initC
v_accvgpr_write acc25, 0x0                         // initC
v_accvgpr_write acc26, 0x0                         // initC
v_accvgpr_write acc27, 0x0                         // initC
v_accvgpr_write acc28, 0x0                         // initC
v_accvgpr_write acc29, 0x0                         // initC
v_accvgpr_write acc30, 0x0                         // initC
v_accvgpr_write acc31, 0x0                         // initC
v_accvgpr_write acc32, 0x0                         // initC
v_accvgpr_write acc33, 0x0                         // initC
v_accvgpr_write acc34, 0x0                         // initC
v_accvgpr_write acc35, 0x0                         // initC
v_accvgpr_write acc36, 0x0                         // initC
v_accvgpr_write acc37, 0x0                         // initC
v_accvgpr_write acc38, 0x0                         // initC
v_accvgpr_write acc39, 0x0                         // initC
v_accvgpr_write acc40, 0x0                         // initC
v_accvgpr_write acc41, 0x0                         // initC
v_accvgpr_write acc42, 0x0                         // initC
v_accvgpr_write acc43, 0x0                         // initC
v_accvgpr_write acc44, 0x0                         // initC
v_accvgpr_write acc45, 0x0                         // initC
v_accvgpr_write acc46, 0x0                         // initC
v_accvgpr_write acc47, 0x0                         // initC
v_accvgpr_write acc48, 0x0                         // initC
v_accvgpr_write acc49, 0x0                         // initC
v_accvgpr_write acc50, 0x0                         // initC
v_accvgpr_write acc51, 0x0                         // initC
v_accvgpr_write acc52, 0x0                         // initC
v_accvgpr_write acc53, 0x0                         // initC
v_accvgpr_write acc54, 0x0                         // initC
v_accvgpr_write acc55, 0x0                         // initC
v_accvgpr_write acc56, 0x0                         // initC
v_accvgpr_write acc57, 0x0                         // initC
v_accvgpr_write acc58, 0x0                         // initC
v_accvgpr_write acc59, 0x0                         // initC
v_accvgpr_write acc60, 0x0                         // initC
v_accvgpr_write acc61, 0x0                         // initC
v_accvgpr_write acc62, 0x0                         // initC
v_accvgpr_write acc63, 0x0                         // initC
v_accvgpr_write acc64, 0x0                         // initC
v_accvgpr_write acc65, 0x0                         // initC
v_accvgpr_write acc66, 0x0                         // initC
v_accvgpr_write acc67, 0x0                         // initC
v_accvgpr_write acc68, 0x0                         // initC
v_accvgpr_write acc69, 0x0                         // initC
v_accvgpr_write acc70, 0x0                         // initC
v_accvgpr_write acc71, 0x0                         // initC
v_accvgpr_write acc72, 0x0                         // initC
v_accvgpr_write acc73, 0x0                         // initC
v_accvgpr_write acc74, 0x0                         // initC
v_accvgpr_write acc75, 0x0                         // initC
v_accvgpr_write acc76, 0x0                         // initC
v_accvgpr_write acc77, 0x0                         // initC
v_accvgpr_write acc78, 0x0                         // initC
v_accvgpr_write acc79, 0x0                         // initC

s_cmp_eq_u32 s[sgprLoopCounterL], 0                // at last iteration?

/* after InitC, skip to end of prefetch last iter if numIter==0 */
s_cbranch_scc0 label_NoBranch_11                   // Only branch on scc1
s_getpc_B64 s[32:33]                               // addr of next instr
s_add_i32 s34, PrefetchGlobalLastIterEnd_5, 0x4    // target branch offset
s_add_u32 s32, s32, s34                            // add target branch offset
s_addc_u32 s33, s33, 0                             // add high and carry
s_setpc_b64 s[32:33]                               // branch to PrefetchGlobalLastIterEnd_5
label_NoBranch_11:

s_waitcnt vmcnt(0)                                 // lgkmcnt=-1 vmcnt=0 8wait for global read


/* local write a */
_ds_store_b64 v[vgprLocalWriteAddrA], v[vgprG2LA+0:vgprG2LA+0+1] offset:0 // lwoA_0_0_0_0 = (0*LSCA) + (0*LSPA)(*MT0I+PAD) = 0
_ds_store_b64 v[vgprLocalWriteAddrA], v[vgprG2LA+2:vgprG2LA+2+1] offset:64 // lwoA_1_0_0_0 = (1*LSCA) + (0*LSPA)(*MT0I+PAD) = 64
_ds_store_b64 v[vgprLocalWriteAddrA], v[vgprG2LA+4:vgprG2LA+4+1] offset:128 // lwoA_2_0_0_0 = (2*LSCA) + (0*LSPA)(*MT0I+PAD) = 128
_ds_store_b64 v[vgprLocalWriteAddrA], v[vgprG2LA+6:vgprG2LA+6+1] offset:192 // lwoA_3_0_0_0 = (3*LSCA) + (0*LSPA)(*MT0I+PAD) = 192
_ds_store_b64 v[vgprLocalWriteAddrA], v[vgprG2LA+8:vgprG2LA+8+1] offset:256 // lwoA_4_0_0_0 = (4*LSCA) + (0*LSPA)(*MT0I+PAD) = 256

/* local write b */
_ds_store_b64 v[vgprLocalWriteAddrB], v[vgprG2LB+0:vgprG2LB+0+1] offset:0 // lwoB_0_0_0_0 = (0*LSCB)*(MT1J+PAD) + (0*LSPB) = 0
_ds_store_b64 v[vgprLocalWriteAddrB], v[vgprG2LB+2:vgprG2LB+2+1] offset:576 // lwoB_0_0_1_0 = (0*LSCB)*(MT1J+PAD) + (1*LSPB) = 576
_ds_store_b64 v[vgprLocalWriteAddrB], v[vgprG2LB+4:vgprG2LB+4+1] offset:1152 // lwoB_0_0_2_0 = (0*LSCB)*(MT1J+PAD) + (2*LSPB) = 1152
_ds_store_b64 v[vgprLocalWriteAddrB], v[vgprG2LB+6:vgprG2LB+6+1] offset:1728 // lwoB_0_0_3_0 = (0*LSCB)*(MT1J+PAD) + (3*LSPB) = 1728


/* local write swap a */

v_xor_b32 v[vgprLocalWriteAddrA+0], 0x8000, v[vgprLocalWriteAddrA+0] // swap Red Blk


/* local write swap b */

v_xor_b32 v[vgprLocalWriteAddrB+0], 0x8000, v[vgprLocalWriteAddrB+0] // swap Red Blk


	;; [unrolled: 1-line block ×3, first 2 shown]
s_cmp_eq_u32 s[sgprLoopCounterL] 0x1               // PGR=2 but only 1 loop
s_cbranch_scc1 label_0012                          // PGR=2 but only 1 loop


_buffer_load_b64 v[vgprG2LA+0:vgprG2LA+0+1], v[vgprGlobalReadOffsetA+0], s[sgprSrdA:sgprSrdA+3], 0, offen offset:0 // G -> Reg 0_0_0_0
_buffer_load_b64 v[vgprG2LA+2:vgprG2LA+2+1], v[vgprGlobalReadOffsetA+1], s[sgprSrdA:sgprSrdA+3], 0, offen offset:0 // G -> Reg 1_0_0_0
_buffer_load_b64 v[vgprG2LA+4:vgprG2LA+4+1], v[vgprGlobalReadOffsetA+2], s[sgprSrdA:sgprSrdA+3], 0, offen offset:0 // G -> Reg 2_0_0_0
_buffer_load_b64 v[vgprG2LA+6:vgprG2LA+6+1], v[vgprGlobalReadOffsetA+3], s[sgprSrdA:sgprSrdA+3], 0, offen offset:0 // G -> Reg 3_0_0_0
_buffer_load_b64 v[vgprG2LA+8:vgprG2LA+8+1], v[vgprGlobalReadOffsetA+4], s[sgprSrdA:sgprSrdA+3], 0, offen offset:0 // G -> Reg 4_0_0_0


_buffer_load_b64 v[vgprG2LB+0:vgprG2LB+0+1], v[vgprGlobalReadOffsetB+0], s[sgprSrdB:sgprSrdB+3], 0, offen offset:0 // G -> Reg 0_0_0_0
_buffer_load_b64 v[vgprG2LB+2:vgprG2LB+2+1], v[vgprGlobalReadOffsetB+1], s[sgprSrdB:sgprSrdB+3], 0, offen offset:0 // G -> Reg 0_0_1_0
_buffer_load_b64 v[vgprG2LB+4:vgprG2LB+4+1], v[vgprGlobalReadOffsetB+2], s[sgprSrdB:sgprSrdB+3], 0, offen offset:0 // G -> Reg 0_0_2_0
_buffer_load_b64 v[vgprG2LB+6:vgprG2LB+6+1], v[vgprGlobalReadOffsetB+3], s[sgprSrdB:sgprSrdB+3], 0, offen offset:0 // G -> Reg 0_0_3_0

label_0012:                                        // 

s_waitcnt lgkmcnt(0)                               // lgkmcnt=0 vmcnt=-10prefetch wait for local write

// Skip force waitcnt0
s_barrier //


/* local read prefetch a */

_ds_load_u16 v[vgprValuA_X0_I0+0], v[vgprLocalReadAddrA] offset:0 // L -> Reg lro=0 swapByteOffset=0 ti=32 vIdx=0 rIdx=0 oIdx=0 buffer=0 iui=0
_ds_load_u16_d16_hi v81, v[vgprLocalReadAddrA] offset:320 // L -> Reg lro=0 swapByteOffset=0 ti=32 vIdx=0 rIdx=1 oIdx=0 buffer=0 iui=0
_ds_load_u16 v[vgprValuA_X0_I0+1], v[vgprLocalReadAddrA] offset:640 // L -> Reg lro=0 swapByteOffset=0 ti=32 vIdx=0 rIdx=2 oIdx=0 buffer=0 iui=0
_ds_load_u16_d16_hi v82, v[vgprLocalReadAddrA] offset:960 // L -> Reg lro=0 swapByteOffset=0 ti=32 vIdx=0 rIdx=3 oIdx=0 buffer=0 iui=0
	;; [unrolled: 2-line block ×10, first 2 shown]


/* local read prefetch b */

_ds_load_b128 v[vgprValuB_X0_I0+0:vgprValuB_X0_I0+0+3], v[vgprLocalReadAddrB] offset:0 // L -> Reg lro=0 swapByteOffset=0 ti=128 vIdx=0 rIdx=0 oIdx=0 buffer=0 iui=0


/* local read inc a */

/* N/A, lro->640 */
/* self.localReadDoCntA 1 self.localReadDoCntB 1 */


/* local read inc b */

/* N/A, lro->16 */
/* self.localReadDoCntA 1 self.localReadDoCntB 1 */



/******************************************/
/* Unrolled Loop(s) - Begin               */
/******************************************/

openLoopL_13:
s_cmp_eq_u32 s[sgprLoopCounterL], 0x1              // LoopCounterL < EndCounter
s_cbranch_scc1 label_0014                          // PGR=2 but only 1 loop, toPGR1
s_cmp_le_u32 s[sgprLoopCounterL], 0x2              // LoopCounterL < EndCounter
s_cbranch_scc1 LoopEndL_2                          // do not enter LoopL
LoopBeginL_1:


/******************************************/
/* Unrolled Loop 1/1 - Begin              */
/******************************************/

label_0015: // LoopCopy1 


/* Begin Each Unroll: Check VGPR.checkin for INT8 LW */


	;; [unrolled: 1-line block ×3, first 2 shown]
/* iter 0 */

/*  grEndMfmaIndex:2, lwStartMfmaIndex:4, lwEndMfmaIndex:14  */
/*  numMfmaForLR:4, barrierMfmaIndex:15, LocalWritePerMfma:0.820 */
/*  mfmaIndex:0  */
s_waitcnt lgkmcnt(0)                               // lgkmcnt=0 vmcnt=-1wait for prior local read local write old=0, new=0 newLW=0 newLR=0
/* pack scheduling: packAIdx:2, packBIdx:0 */
v_or_b32 v[vgprValuA_X0_I0+0], v[vgprValuA_X0_I0+0], v81 // pack two half Vgpr to one Vgpr
v_or_b32 v[vgprValuA_X0_I0+1], v[vgprValuA_X0_I0+1], v82 // pack two half Vgpr to one Vgpr
	;; [unrolled: 1-line block ×4, first 2 shown]
v_mfma_f32_32x32x8f16 a[0+0:15+0], v[vgprValuA_X0_I0+0+0+0:vgprValuA_X0_I0+0+0+0+1], v[vgprValuB_X0_I0+0+0+0:vgprValuB_X0_I0+0+0+0+1], a[0:15]
/*  mfmaIndex:1  */
_ds_load_u16 v[vgprValuA_X1_I0+0], v[vgprLocalReadAddrA] offset:1280 // L -> Reg lro=640 swapByteOffset=0 ti=32 vIdx=0 rIdx=0 oIdx=0 buffer=1 iui=0
_ds_load_u16_d16_hi v91, v[vgprLocalReadAddrA] offset:1600 // L -> Reg lro=640 swapByteOffset=0 ti=32 vIdx=0 rIdx=1 oIdx=0 buffer=1 iui=0
_ds_load_u16 v[vgprValuA_X1_I0+1], v[vgprLocalReadAddrA] offset:1920 // L -> Reg lro=640 swapByteOffset=0 ti=32 vIdx=0 rIdx=2 oIdx=0 buffer=1 iui=0
_ds_load_u16_d16_hi v92, v[vgprLocalReadAddrA] offset:2240 // L -> Reg lro=640 swapByteOffset=0 ti=32 vIdx=0 rIdx=3 oIdx=0 buffer=1 iui=0
_ds_load_b128 v[vgprValuB_X2_I0+0:vgprValuB_X2_I0+0+3], v[vgprLocalReadAddrB] offset:32 // L -> Reg lro=16 swapByteOffset=0 ti=128 vIdx=0 rIdx=0 oIdx=0 buffer=2 iui=0
_ds_load_u16 v[vgprValuA_X1_I0+2], v[vgprLocalReadAddrA] offset:1344 // L -> Reg lro=640 swapByteOffset=0 ti=32 vIdx=1 rIdx=0 oIdx=0 buffer=1 iui=0

/* global read inc A loopL */
s_add_u32 s[sgprSrdA+0], s[sgprSrdA+0], s[sgprGlobalReadIncsA+0] // gra SRD += inc(lower)
s_addc_u32  s[sgprSrdA+1], s[sgprSrdA+1], 0        // gra SRD += inc(upper)
s_sub_u32 s[sgprShadowLimitA+0], s[sgprShadowLimitA+0], s[sgprGlobalReadIncsA+0] // limit -= inc)
s_subb_u32 s[sgprShadowLimitA+1], s[sgprShadowLimitA+1], 0 // limit -= inc)
s_cmp_eq_u32 s[sgprShadowLimitA+1], 0              // are we within 2^32?
s_cmov_b32 s[sgprSrdA+2], s[sgprShadowLimitA+0]    // Move shadow to real if we are within 2^32

/* global read inc B loopL */
s_add_u32 s[sgprSrdB+0], s[sgprSrdB+0], s[sgprGlobalReadIncsB+0] // gra SRD += inc(lower)
/* pack scheduling: packAIdx:4, packBIdx:0 */
v_or_b32 v[vgprValuA_X0_I0+4], v[vgprValuA_X0_I0+4], v85 // pack two half Vgpr to one Vgpr
v_or_b32 v[vgprValuA_X0_I0+5], v[vgprValuA_X0_I0+5], v86 // pack two half Vgpr to one Vgpr
	;; [unrolled: 1-line block ×4, first 2 shown]
v_mfma_f32_32x32x8f16 a[16+0:31+0], v[vgprValuA_X0_I0+2+0+0:vgprValuA_X0_I0+2+0+0+1], v[vgprValuB_X0_I0+0+0+0:vgprValuB_X0_I0+0+0+0+1], a[16:31]
/*  mfmaIndex:2  */
_ds_load_u16_d16_hi v93, v[vgprLocalReadAddrA] offset:1664 // L -> Reg lro=640 swapByteOffset=0 ti=32 vIdx=1 rIdx=1 oIdx=0 buffer=1 iui=0
_ds_load_u16 v[vgprValuA_X1_I0+3], v[vgprLocalReadAddrA] offset:1984 // L -> Reg lro=640 swapByteOffset=0 ti=32 vIdx=1 rIdx=2 oIdx=0 buffer=1 iui=0
_ds_load_u16_d16_hi v94, v[vgprLocalReadAddrA] offset:2304 // L -> Reg lro=640 swapByteOffset=0 ti=32 vIdx=1 rIdx=3 oIdx=0 buffer=1 iui=0
_ds_load_u16 v[vgprValuA_X1_I0+4], v[vgprLocalReadAddrA] offset:1408 // L -> Reg lro=640 swapByteOffset=0 ti=32 vIdx=2 rIdx=0 oIdx=0 buffer=1 iui=0
	;; [unrolled: 2-line block ×3, first 2 shown]
s_addc_u32  s[sgprSrdB+1], s[sgprSrdB+1], 0        // gra SRD += inc(upper)
s_sub_u32 s[sgprShadowLimitB+0], s[sgprShadowLimitB+0], s[sgprGlobalReadIncsB+0] // limit -= inc)
s_subb_u32 s[sgprShadowLimitB+1], s[sgprShadowLimitB+1], 0 // limit -= inc)
s_cmp_eq_u32 s[sgprShadowLimitB+1], 0              // are we within 2^32?
s_cmov_b32 s[sgprSrdB+2], s[sgprShadowLimitB+0]    // Move shadow to real if we are within 2^32
/* pack scheduling: packAIdx:6, packBIdx:0 */
v_or_b32 v[vgprValuA_X0_I0+8], v[vgprValuA_X0_I0+8], v89 // pack two half Vgpr to one Vgpr
v_or_b32 v[vgprValuA_X0_I0+9], v[vgprValuA_X0_I0+9], v90 // pack two half Vgpr to one Vgpr
v_mfma_f32_32x32x8f16 a[32+0:47+0], v[vgprValuA_X0_I0+4+0+0:vgprValuA_X0_I0+4+0+0+1], v[vgprValuB_X0_I0+0+0+0:vgprValuB_X0_I0+0+0+0+1], a[32:47]
/*  mfmaIndex:3  */
_ds_load_u16_d16_hi v96, v[vgprLocalReadAddrA] offset:2368 // L -> Reg lro=640 swapByteOffset=0 ti=32 vIdx=2 rIdx=3 oIdx=0 buffer=1 iui=0
_ds_load_u16 v[vgprValuA_X1_I0+6], v[vgprLocalReadAddrA] offset:1472 // L -> Reg lro=640 swapByteOffset=0 ti=32 vIdx=3 rIdx=0 oIdx=0 buffer=1 iui=0
_ds_load_u16_d16_hi v97, v[vgprLocalReadAddrA] offset:1792 // L -> Reg lro=640 swapByteOffset=0 ti=32 vIdx=3 rIdx=1 oIdx=0 buffer=1 iui=0
_ds_load_u16 v[vgprValuA_X1_I0+7], v[vgprLocalReadAddrA] offset:2112 // L -> Reg lro=640 swapByteOffset=0 ti=32 vIdx=3 rIdx=2 oIdx=0 buffer=1 iui=0
	;; [unrolled: 2-line block ×3, first 2 shown]
v_mfma_f32_32x32x8f16 a[48+0:63+0], v[vgprValuA_X0_I0+6+0+0:vgprValuA_X0_I0+6+0+0+1], v[vgprValuB_X0_I0+0+0+0:vgprValuB_X0_I0+0+0+0+1], a[48:63]
/*  mfmaIndex:4  */
_ds_load_u16_d16_hi v99, v[vgprLocalReadAddrA] offset:1856 // L -> Reg lro=640 swapByteOffset=0 ti=32 vIdx=4 rIdx=1 oIdx=0 buffer=1 iui=0
_ds_load_u16 v[vgprValuA_X1_I0+9], v[vgprLocalReadAddrA] offset:2176 // L -> Reg lro=640 swapByteOffset=0 ti=32 vIdx=4 rIdx=2 oIdx=0 buffer=1 iui=0
_ds_load_u16_d16_hi v100, v[vgprLocalReadAddrA] offset:2496 // L -> Reg lro=640 swapByteOffset=0 ti=32 vIdx=4 rIdx=3 oIdx=0 buffer=1 iui=0
/* localReadsVacancy: latencyLeft 1 */
/* sched write - iter 0 writesPerItem=1 */
s_waitcnt vmcnt(0)                                 // lgkmcnt=-1 vmcnt=0wait for global read before writing to local
_ds_store_b64 v[vgprLocalWriteAddrA], v[vgprG2LA+0:vgprG2LA+0+1] offset:0 // lwoA_0_0_0_0 = (0*LSCA) + (0*LSPA)(*MT0I+PAD) = 0
v_mfma_f32_32x32x8f16 a[64+0:79+0], v[vgprValuA_X0_I0+8+0+0:vgprValuA_X0_I0+8+0+0+1], v[vgprValuB_X0_I0+0+0+0:vgprValuB_X0_I0+0+0+0+1], a[64:79]
/* numPrefetchIter=0 */
/* dataAtIterA=-1 numReadsIterA=1 skipReadsIterA=1 readsPerIterA=20 */
/* dataAtIterB=-1 numReadsIterB=1 skipReadsIterB=1 readsPerIterB=1 */


/* iter 1 */

/*  grEndMfmaIndex:2, lwStartMfmaIndex:4, lwEndMfmaIndex:14  */
/*  numMfmaForLR:4, barrierMfmaIndex:15, LocalWritePerMfma:0.820 */
/*  mfmaIndex:5  */
_ds_load_u16 v[vgprValuA_X2_I0+0], v[vgprLocalReadAddrA] offset:5120 // L -> Reg lro=2560 swapByteOffset=0 ti=32 vIdx=0 rIdx=0 oIdx=0 buffer=2 iui=0
_ds_load_u16_d16_hi v81, v[vgprLocalReadAddrA] offset:5440 // L -> Reg lro=2560 swapByteOffset=0 ti=32 vIdx=0 rIdx=1 oIdx=0 buffer=2 iui=0
_ds_load_u16 v[vgprValuA_X2_I0+1], v[vgprLocalReadAddrA] offset:5760 // L -> Reg lro=2560 swapByteOffset=0 ti=32 vIdx=0 rIdx=2 oIdx=0 buffer=2 iui=0
_ds_load_u16_d16_hi v82, v[vgprLocalReadAddrA] offset:6080 // L -> Reg lro=2560 swapByteOffset=0 ti=32 vIdx=0 rIdx=3 oIdx=0 buffer=2 iui=0
_buffer_load_b64 v[vgprG2LA+0:vgprG2LA+0+1], v[vgprGlobalReadOffsetA+0], s[sgprSrdA:sgprSrdA+3], 0, offen offset:0 // G -> Reg 0_0_0_0
/* sched write - iter 1 writesPerItem=1 */
s_waitcnt vmcnt(0)                                 // lgkmcnt=-1 vmcnt=0wait for global read before writing to local
_ds_store_b64 v[vgprLocalWriteAddrA], v[vgprG2LA+2:vgprG2LA+2+1] offset:64 // lwoA_1_0_0_0 = (1*LSCA) + (0*LSPA)(*MT0I+PAD) = 64
s_waitcnt lgkmcnt(6)                               // lgkmcnt=0 vmcnt=-1wait for prior local read local write old=0, new=6 newLW=2 newLR=4
/* pack scheduling: packAIdx:2, packBIdx:0 */
v_or_b32 v[vgprValuA_X1_I0+0], v[vgprValuA_X1_I0+0], v91 // pack two half Vgpr to one Vgpr
v_or_b32 v[vgprValuA_X1_I0+1], v[vgprValuA_X1_I0+1], v92 // pack two half Vgpr to one Vgpr
	;; [unrolled: 1-line block ×4, first 2 shown]
v_mfma_f32_32x32x8f16 a[0+0:15+0], v[vgprValuA_X1_I0+0+0+0:vgprValuA_X1_I0+0+0+0+1], v[vgprValuB_X0_I0+0+2+0:vgprValuB_X0_I0+0+2+0+1], a[0:15]
/*  mfmaIndex:6  */
_ds_load_u16 v[vgprValuA_X2_I0+2], v[vgprLocalReadAddrA] offset:5184 // L -> Reg lro=2560 swapByteOffset=0 ti=32 vIdx=1 rIdx=0 oIdx=0 buffer=2 iui=0
_ds_load_u16_d16_hi v83, v[vgprLocalReadAddrA] offset:5504 // L -> Reg lro=2560 swapByteOffset=0 ti=32 vIdx=1 rIdx=1 oIdx=0 buffer=2 iui=0
_ds_load_u16 v[vgprValuA_X2_I0+3], v[vgprLocalReadAddrA] offset:5824 // L -> Reg lro=2560 swapByteOffset=0 ti=32 vIdx=1 rIdx=2 oIdx=0 buffer=2 iui=0
_ds_load_u16_d16_hi v84, v[vgprLocalReadAddrA] offset:6144 // L -> Reg lro=2560 swapByteOffset=0 ti=32 vIdx=1 rIdx=3 oIdx=0 buffer=2 iui=0
_buffer_load_b64 v[vgprG2LA+2:vgprG2LA+2+1], v[vgprGlobalReadOffsetA+1], s[sgprSrdA:sgprSrdA+3], 0, offen offset:0 // G -> Reg 1_0_0_0
/* sched write - iter 1 writesPerItem=1 */
s_waitcnt vmcnt(0)                                 // lgkmcnt=-1 vmcnt=0wait for global read before writing to local
_ds_store_b64 v[vgprLocalWriteAddrA], v[vgprG2LA+4:vgprG2LA+4+1] offset:128 // lwoA_2_0_0_0 = (2*LSCA) + (0*LSPA)(*MT0I+PAD) = 128
/* pack scheduling: packAIdx:4, packBIdx:0 */
v_or_b32 v[vgprValuA_X1_I0+4], v[vgprValuA_X1_I0+4], v95 // pack two half Vgpr to one Vgpr
v_or_b32 v[vgprValuA_X1_I0+5], v[vgprValuA_X1_I0+5], v96 // pack two half Vgpr to one Vgpr
v_or_b32 v[vgprValuA_X1_I0+6], v[vgprValuA_X1_I0+6], v97 // pack two half Vgpr to one Vgpr
v_or_b32 v[vgprValuA_X1_I0+7], v[vgprValuA_X1_I0+7], v98 // pack two half Vgpr to one Vgpr
v_mfma_f32_32x32x8f16 a[16+0:31+0], v[vgprValuA_X1_I0+2+0+0:vgprValuA_X1_I0+2+0+0+1], v[vgprValuB_X0_I0+0+2+0:vgprValuB_X0_I0+0+2+0+1], a[16:31]
/*  mfmaIndex:7  */
_ds_load_u16 v[vgprValuA_X2_I0+4], v[vgprLocalReadAddrA] offset:5248 // L -> Reg lro=2560 swapByteOffset=0 ti=32 vIdx=2 rIdx=0 oIdx=0 buffer=2 iui=0
_ds_load_u16_d16_hi v85, v[vgprLocalReadAddrA] offset:5568 // L -> Reg lro=2560 swapByteOffset=0 ti=32 vIdx=2 rIdx=1 oIdx=0 buffer=2 iui=0
_ds_load_u16 v[vgprValuA_X2_I0+5], v[vgprLocalReadAddrA] offset:5888 // L -> Reg lro=2560 swapByteOffset=0 ti=32 vIdx=2 rIdx=2 oIdx=0 buffer=2 iui=0
_ds_load_u16_d16_hi v86, v[vgprLocalReadAddrA] offset:6208 // L -> Reg lro=2560 swapByteOffset=0 ti=32 vIdx=2 rIdx=3 oIdx=0 buffer=2 iui=0
_buffer_load_b64 v[vgprG2LA+4:vgprG2LA+4+1], v[vgprGlobalReadOffsetA+2], s[sgprSrdA:sgprSrdA+3], 0, offen offset:0 // G -> Reg 2_0_0_0
/* sched write - iter 1 writesPerItem=1 */
s_waitcnt vmcnt(0)                                 // lgkmcnt=-1 vmcnt=0wait for global read before writing to local
_ds_store_b64 v[vgprLocalWriteAddrA], v[vgprG2LA+6:vgprG2LA+6+1] offset:192 // lwoA_3_0_0_0 = (3*LSCA) + (0*LSPA)(*MT0I+PAD) = 192
/* pack scheduling: packAIdx:6, packBIdx:0 */
v_or_b32 v[vgprValuA_X1_I0+8], v[vgprValuA_X1_I0+8], v99 // pack two half Vgpr to one Vgpr
v_or_b32 v[vgprValuA_X1_I0+9], v[vgprValuA_X1_I0+9], v100 // pack two half Vgpr to one Vgpr
v_mfma_f32_32x32x8f16 a[32+0:47+0], v[vgprValuA_X1_I0+4+0+0:vgprValuA_X1_I0+4+0+0+1], v[vgprValuB_X0_I0+0+2+0:vgprValuB_X0_I0+0+2+0+1], a[32:47]
/*  mfmaIndex:8  */
_ds_load_u16 v[vgprValuA_X2_I0+6], v[vgprLocalReadAddrA] offset:5312 // L -> Reg lro=2560 swapByteOffset=0 ti=32 vIdx=3 rIdx=0 oIdx=0 buffer=2 iui=0
_ds_load_u16_d16_hi v87, v[vgprLocalReadAddrA] offset:5632 // L -> Reg lro=2560 swapByteOffset=0 ti=32 vIdx=3 rIdx=1 oIdx=0 buffer=2 iui=0
_ds_load_u16 v[vgprValuA_X2_I0+7], v[vgprLocalReadAddrA] offset:5952 // L -> Reg lro=2560 swapByteOffset=0 ti=32 vIdx=3 rIdx=2 oIdx=0 buffer=2 iui=0
_ds_load_u16_d16_hi v88, v[vgprLocalReadAddrA] offset:6272 // L -> Reg lro=2560 swapByteOffset=0 ti=32 vIdx=3 rIdx=3 oIdx=0 buffer=2 iui=0
_buffer_load_b64 v[vgprG2LA+6:vgprG2LA+6+1], v[vgprGlobalReadOffsetA+3], s[sgprSrdA:sgprSrdA+3], 0, offen offset:0 // G -> Reg 3_0_0_0
/* sched write - iter 1 writesPerItem=1 */
s_waitcnt vmcnt(0)                                 // lgkmcnt=-1 vmcnt=0wait for global read before writing to local
_ds_store_b64 v[vgprLocalWriteAddrA], v[vgprG2LA+8:vgprG2LA+8+1] offset:256 // lwoA_4_0_0_0 = (4*LSCA) + (0*LSPA)(*MT0I+PAD) = 256
v_mfma_f32_32x32x8f16 a[48+0:63+0], v[vgprValuA_X1_I0+6+0+0:vgprValuA_X1_I0+6+0+0+1], v[vgprValuB_X0_I0+0+2+0:vgprValuB_X0_I0+0+2+0+1], a[48:63]
/*  mfmaIndex:9  */
_ds_load_u16 v[vgprValuA_X2_I0+8], v[vgprLocalReadAddrA] offset:5376 // L -> Reg lro=2560 swapByteOffset=0 ti=32 vIdx=4 rIdx=0 oIdx=0 buffer=2 iui=0
_ds_load_u16_d16_hi v89, v[vgprLocalReadAddrA] offset:5696 // L -> Reg lro=2560 swapByteOffset=0 ti=32 vIdx=4 rIdx=1 oIdx=0 buffer=2 iui=0
_ds_load_u16 v[vgprValuA_X2_I0+9], v[vgprLocalReadAddrA] offset:6016 // L -> Reg lro=2560 swapByteOffset=0 ti=32 vIdx=4 rIdx=2 oIdx=0 buffer=2 iui=0
_ds_load_u16_d16_hi v90, v[vgprLocalReadAddrA] offset:6336 // L -> Reg lro=2560 swapByteOffset=0 ti=32 vIdx=4 rIdx=3 oIdx=0 buffer=2 iui=0
/* localReadsVacancy: latencyLeft 5 */
_ds_load_u16 v[vgprValuA_X3_I0+0], v[vgprLocalReadAddrA] offset:6400 // L -> Reg lro=3200 swapByteOffset=0 ti=32 vIdx=0 rIdx=0 oIdx=0 buffer=3 iui=0
_ds_load_u16 v[vgprValuA_X3_I0+1], v[vgprLocalReadAddrA] offset:7040 // L -> Reg lro=3200 swapByteOffset=0 ti=32 vIdx=0 rIdx=2 oIdx=0 buffer=3 iui=0
_buffer_load_b64 v[vgprG2LA+8:vgprG2LA+8+1], v[vgprGlobalReadOffsetA+4], s[sgprSrdA:sgprSrdA+3], 0, offen offset:0 // G -> Reg 4_0_0_0
v_mfma_f32_32x32x8f16 a[64+0:79+0], v[vgprValuA_X1_I0+8+0+0:vgprValuA_X1_I0+8+0+0+1], v[vgprValuB_X0_I0+0+2+0:vgprValuB_X0_I0+0+2+0+1], a[64:79]
/* numPrefetchIter=0 */
/* dataAtIterA=0 numReadsIterA=2 skipReadsIterA=1 readsPerIterA=20 */
/* dataAtIterB=-1 numReadsIterB=1 skipReadsIterB=0 readsPerIterB=1 */


/* iter 2 (reset local read pointers iteration)  (swap and reset local write pointers iteration)  (swap local read pointers iteration)  */

/*  grEndMfmaIndex:2, lwStartMfmaIndex:4, lwEndMfmaIndex:14  */
/*  numMfmaForLR:4, barrierMfmaIndex:15, LocalWritePerMfma:0.820 */
/*  mfmaIndex:10  */
_ds_load_u16_d16_hi v91, v[vgprLocalReadAddrA] offset:6720 // L -> Reg lro=3200 swapByteOffset=0 ti=32 vIdx=0 rIdx=1 oIdx=0 buffer=3 iui=0
_ds_load_u16_d16_hi v92, v[vgprLocalReadAddrA] offset:7360 // L -> Reg lro=3200 swapByteOffset=0 ti=32 vIdx=0 rIdx=3 oIdx=0 buffer=3 iui=0
_ds_load_u16 v[vgprValuA_X3_I0+2], v[vgprLocalReadAddrA] offset:6464 // L -> Reg lro=3200 swapByteOffset=0 ti=32 vIdx=1 rIdx=0 oIdx=0 buffer=3 iui=0
_ds_load_u16_d16_hi v93, v[vgprLocalReadAddrA] offset:6784 // L -> Reg lro=3200 swapByteOffset=0 ti=32 vIdx=1 rIdx=1 oIdx=0 buffer=3 iui=0
/* sched write - iter 2 writesPerItem=1 */
s_waitcnt vmcnt(0)                                 // lgkmcnt=-1 vmcnt=0wait for global read before writing to local
_ds_store_b64 v[vgprLocalWriteAddrB], v[vgprG2LB+0:vgprG2LB+0+1] offset:0 // lwoB_0_0_0_0 = (0*LSCB)*(MT1J+PAD) + (0*LSPB) = 0
s_waitcnt lgkmcnt(7)                               // lgkmcnt=0 vmcnt=-1wait for prior local read local write old=2, new=7 newLW=1 newLR=4
/* pack scheduling: packAIdx:2, packBIdx:0 */
v_or_b32 v[vgprValuA_X2_I0+0], v[vgprValuA_X2_I0+0], v81 // pack two half Vgpr to one Vgpr
v_or_b32 v[vgprValuA_X2_I0+1], v[vgprValuA_X2_I0+1], v82 // pack two half Vgpr to one Vgpr
	;; [unrolled: 1-line block ×4, first 2 shown]
v_mfma_f32_32x32x8f16 a[0+0:15+0], v[vgprValuA_X2_I0+0+0+0:vgprValuA_X2_I0+0+0+0+1], v[vgprValuB_X2_I0+0+0+0:vgprValuB_X2_I0+0+0+0+1], a[0:15]
/*  mfmaIndex:11  */
_ds_load_u16 v[vgprValuA_X3_I0+3], v[vgprLocalReadAddrA] offset:7104 // L -> Reg lro=3200 swapByteOffset=0 ti=32 vIdx=1 rIdx=2 oIdx=0 buffer=3 iui=0
_ds_load_u16_d16_hi v94, v[vgprLocalReadAddrA] offset:7424 // L -> Reg lro=3200 swapByteOffset=0 ti=32 vIdx=1 rIdx=3 oIdx=0 buffer=3 iui=0
_ds_load_u16 v[vgprValuA_X3_I0+4], v[vgprLocalReadAddrA] offset:6528 // L -> Reg lro=3200 swapByteOffset=0 ti=32 vIdx=2 rIdx=0 oIdx=0 buffer=3 iui=0
_ds_load_u16_d16_hi v95, v[vgprLocalReadAddrA] offset:6848 // L -> Reg lro=3200 swapByteOffset=0 ti=32 vIdx=2 rIdx=1 oIdx=0 buffer=3 iui=0
_buffer_load_b64 v[vgprG2LB+0:vgprG2LB+0+1], v[vgprGlobalReadOffsetB+0], s[sgprSrdB:sgprSrdB+3], 0, offen offset:0 // G -> Reg 0_0_0_0
/* sched write - iter 2 writesPerItem=1 */
s_waitcnt vmcnt(0)                                 // lgkmcnt=-1 vmcnt=0wait for global read before writing to local
_ds_store_b64 v[vgprLocalWriteAddrB], v[vgprG2LB+2:vgprG2LB+2+1] offset:576 // lwoB_0_0_1_0 = (0*LSCB)*(MT1J+PAD) + (1*LSPB) = 576
/* pack scheduling: packAIdx:4, packBIdx:0 */
v_or_b32 v[vgprValuA_X2_I0+4], v[vgprValuA_X2_I0+4], v85 // pack two half Vgpr to one Vgpr
v_or_b32 v[vgprValuA_X2_I0+5], v[vgprValuA_X2_I0+5], v86 // pack two half Vgpr to one Vgpr
	;; [unrolled: 1-line block ×4, first 2 shown]
v_mfma_f32_32x32x8f16 a[16+0:31+0], v[vgprValuA_X2_I0+2+0+0:vgprValuA_X2_I0+2+0+0+1], v[vgprValuB_X2_I0+0+0+0:vgprValuB_X2_I0+0+0+0+1], a[16:31]
/*  mfmaIndex:12  */
_ds_load_u16 v[vgprValuA_X3_I0+5], v[vgprLocalReadAddrA] offset:7168 // L -> Reg lro=3200 swapByteOffset=0 ti=32 vIdx=2 rIdx=2 oIdx=0 buffer=3 iui=0
_ds_load_u16_d16_hi v96, v[vgprLocalReadAddrA] offset:7488 // L -> Reg lro=3200 swapByteOffset=0 ti=32 vIdx=2 rIdx=3 oIdx=0 buffer=3 iui=0
_ds_load_u16 v[vgprValuA_X3_I0+6], v[vgprLocalReadAddrA] offset:6592 // L -> Reg lro=3200 swapByteOffset=0 ti=32 vIdx=3 rIdx=0 oIdx=0 buffer=3 iui=0
_ds_load_u16_d16_hi v97, v[vgprLocalReadAddrA] offset:6912 // L -> Reg lro=3200 swapByteOffset=0 ti=32 vIdx=3 rIdx=1 oIdx=0 buffer=3 iui=0
_buffer_load_b64 v[vgprG2LB+2:vgprG2LB+2+1], v[vgprGlobalReadOffsetB+1], s[sgprSrdB:sgprSrdB+3], 0, offen offset:0 // G -> Reg 0_0_1_0
/* sched write - iter 2 writesPerItem=1 */
s_waitcnt vmcnt(0)                                 // lgkmcnt=-1 vmcnt=0wait for global read before writing to local
_ds_store_b64 v[vgprLocalWriteAddrB], v[vgprG2LB+4:vgprG2LB+4+1] offset:1152 // lwoB_0_0_2_0 = (0*LSCB)*(MT1J+PAD) + (2*LSPB) = 1152
/* pack scheduling: packAIdx:6, packBIdx:0 */
v_or_b32 v[vgprValuA_X2_I0+8], v[vgprValuA_X2_I0+8], v89 // pack two half Vgpr to one Vgpr
v_or_b32 v[vgprValuA_X2_I0+9], v[vgprValuA_X2_I0+9], v90 // pack two half Vgpr to one Vgpr
v_mfma_f32_32x32x8f16 a[32+0:47+0], v[vgprValuA_X2_I0+4+0+0:vgprValuA_X2_I0+4+0+0+1], v[vgprValuB_X2_I0+0+0+0:vgprValuB_X2_I0+0+0+0+1], a[32:47]
/*  mfmaIndex:13  */
_ds_load_u16 v[vgprValuA_X3_I0+7], v[vgprLocalReadAddrA] offset:7232 // L -> Reg lro=3200 swapByteOffset=0 ti=32 vIdx=3 rIdx=2 oIdx=0 buffer=3 iui=0
_ds_load_u16_d16_hi v98, v[vgprLocalReadAddrA] offset:7552 // L -> Reg lro=3200 swapByteOffset=0 ti=32 vIdx=3 rIdx=3 oIdx=0 buffer=3 iui=0
_ds_load_u16 v[vgprValuA_X3_I0+8], v[vgprLocalReadAddrA] offset:6656 // L -> Reg lro=3200 swapByteOffset=0 ti=32 vIdx=4 rIdx=0 oIdx=0 buffer=3 iui=0
_buffer_load_b64 v[vgprG2LB+4:vgprG2LB+4+1], v[vgprGlobalReadOffsetB+2], s[sgprSrdB:sgprSrdB+3], 0, offen offset:0 // G -> Reg 0_0_2_0
/* sched write - iter 2 writesPerItem=1 */
s_waitcnt vmcnt(0)                                 // lgkmcnt=-1 vmcnt=0wait for global read before writing to local
_ds_store_b64 v[vgprLocalWriteAddrB], v[vgprG2LB+6:vgprG2LB+6+1] offset:1728 // lwoB_0_0_3_0 = (0*LSCB)*(MT1J+PAD) + (3*LSPB) = 1728
v_mfma_f32_32x32x8f16 a[48+0:63+0], v[vgprValuA_X2_I0+6+0+0:vgprValuA_X2_I0+6+0+0+1], v[vgprValuB_X2_I0+0+0+0:vgprValuB_X2_I0+0+0+0+1], a[48:63]
/*  mfmaIndex:14  */
_ds_load_u16_d16_hi v99, v[vgprLocalReadAddrA] offset:6976 // L -> Reg lro=3200 swapByteOffset=0 ti=32 vIdx=4 rIdx=1 oIdx=0 buffer=3 iui=0
_ds_load_u16 v[vgprValuA_X3_I0+9], v[vgprLocalReadAddrA] offset:7296 // L -> Reg lro=3200 swapByteOffset=0 ti=32 vIdx=4 rIdx=2 oIdx=0 buffer=3 iui=0
_ds_load_u16_d16_hi v100, v[vgprLocalReadAddrA] offset:7616 // L -> Reg lro=3200 swapByteOffset=0 ti=32 vIdx=4 rIdx=3 oIdx=0 buffer=3 iui=0
/* localReadsVacancy: latencyLeft 7 */
_buffer_load_b64 v[vgprG2LB+6:vgprG2LB+6+1], v[vgprGlobalReadOffsetB+3], s[sgprSrdB:sgprSrdB+3], 0, offen offset:0 // G -> Reg 0_0_3_0

/* local write swap offsets a */
v_xor_b32 v[vgprLocalWriteAddrA+0], 0x8000, v[vgprLocalWriteAddrA+0] // swap Red Blk

/* local write swap offsets b */
v_xor_b32 v[vgprLocalWriteAddrB+0], 0x8000, v[vgprLocalWriteAddrB+0] // swap Red Blk

/* local read swap offsets a */
v_xor_b32 v[vgprLocalReadAddrA], 0x8000, v[vgprLocalReadAddrA] // swap Red Blk

/* local read swap offsets b */
v_xor_b32 v[vgprLocalReadAddrB], 0x8000, v[vgprLocalReadAddrB] // swap Red Blk

/* local read init pointers a */

/* localReadInitPointers */

/* local read init pointers b */

/* localReadInitPointers */
v_mfma_f32_32x32x8f16 a[64+0:79+0], v[vgprValuA_X2_I0+8+0+0:vgprValuA_X2_I0+8+0+0+1], v[vgprValuB_X2_I0+0+0+0:vgprValuB_X2_I0+0+0+0+1], a[64:79]
/* numPrefetchIter=0 */
/* dataAtIterA=1 numReadsIterA=3 skipReadsIterA=1 readsPerIterA=20 */
/* dataAtIterB=0 numReadsIterB=1 skipReadsIterB=0 readsPerIterB=1 */


/* iter 3 */

/*  grEndMfmaIndex:2, lwStartMfmaIndex:4, lwEndMfmaIndex:14  */
/*  numMfmaForLR:4, barrierMfmaIndex:15, LocalWritePerMfma:0.820 */
/*  mfmaIndex:15  */
s_waitcnt lgkmcnt(0)                               // lgkmcnt=0 vmcnt=-13wait for local write
// Skip force waitcnt0
s_barrier //
s_waitcnt lgkmcnt(0)                               // lgkmcnt=0 vmcnt=-1wait for prior local read local write old=0, new=0 newLW=0 newLR=0
/* pack scheduling: packAIdx:2, packBIdx:0 */
v_or_b32 v[vgprValuA_X3_I0+0], v[vgprValuA_X3_I0+0], v91 // pack two half Vgpr to one Vgpr
v_or_b32 v[vgprValuA_X3_I0+1], v[vgprValuA_X3_I0+1], v92 // pack two half Vgpr to one Vgpr
	;; [unrolled: 1-line block ×4, first 2 shown]
v_mfma_f32_32x32x8f16 a[0+0:15+0], v[vgprValuA_X3_I0+0+0+0:vgprValuA_X3_I0+0+0+0+1], v[vgprValuB_X2_I0+0+2+0:vgprValuB_X2_I0+0+2+0+1], a[0:15]
/*  mfmaIndex:16  */
_ds_load_u16 v[vgprValuA_X0_I0+0], v[vgprLocalReadAddrA] offset:0 // L -> Reg lro=0 swapByteOffset=0 ti=32 vIdx=0 rIdx=0 oIdx=0 buffer=0 iui=0
_ds_load_u16_d16_hi v81, v[vgprLocalReadAddrA] offset:320 // L -> Reg lro=0 swapByteOffset=0 ti=32 vIdx=0 rIdx=1 oIdx=0 buffer=0 iui=0
_ds_load_u16 v[vgprValuA_X0_I0+1], v[vgprLocalReadAddrA] offset:640 // L -> Reg lro=0 swapByteOffset=0 ti=32 vIdx=0 rIdx=2 oIdx=0 buffer=0 iui=0
_ds_load_u16_d16_hi v82, v[vgprLocalReadAddrA] offset:960 // L -> Reg lro=0 swapByteOffset=0 ti=32 vIdx=0 rIdx=3 oIdx=0 buffer=0 iui=0
_ds_load_b128 v[vgprValuB_X0_I0+0:vgprValuB_X0_I0+0+3], v[vgprLocalReadAddrB] offset:0 // L -> Reg lro=0 swapByteOffset=0 ti=128 vIdx=0 rIdx=0 oIdx=0 buffer=0 iui=0
_ds_load_u16 v[vgprValuA_X0_I0+2], v[vgprLocalReadAddrA] offset:64 // L -> Reg lro=0 swapByteOffset=0 ti=32 vIdx=1 rIdx=0 oIdx=0 buffer=0 iui=0
/* pack scheduling: packAIdx:4, packBIdx:0 */
v_or_b32 v[vgprValuA_X3_I0+4], v[vgprValuA_X3_I0+4], v95 // pack two half Vgpr to one Vgpr
v_or_b32 v[vgprValuA_X3_I0+5], v[vgprValuA_X3_I0+5], v96 // pack two half Vgpr to one Vgpr
	;; [unrolled: 1-line block ×4, first 2 shown]
v_mfma_f32_32x32x8f16 a[16+0:31+0], v[vgprValuA_X3_I0+2+0+0:vgprValuA_X3_I0+2+0+0+1], v[vgprValuB_X2_I0+0+2+0:vgprValuB_X2_I0+0+2+0+1], a[16:31]
/*  mfmaIndex:17  */
_ds_load_u16_d16_hi v83, v[vgprLocalReadAddrA] offset:384 // L -> Reg lro=0 swapByteOffset=0 ti=32 vIdx=1 rIdx=1 oIdx=0 buffer=0 iui=0
_ds_load_u16 v[vgprValuA_X0_I0+3], v[vgprLocalReadAddrA] offset:704 // L -> Reg lro=0 swapByteOffset=0 ti=32 vIdx=1 rIdx=2 oIdx=0 buffer=0 iui=0
_ds_load_u16_d16_hi v84, v[vgprLocalReadAddrA] offset:1024 // L -> Reg lro=0 swapByteOffset=0 ti=32 vIdx=1 rIdx=3 oIdx=0 buffer=0 iui=0
_ds_load_u16 v[vgprValuA_X0_I0+4], v[vgprLocalReadAddrA] offset:128 // L -> Reg lro=0 swapByteOffset=0 ti=32 vIdx=2 rIdx=0 oIdx=0 buffer=0 iui=0
	;; [unrolled: 2-line block ×3, first 2 shown]
/* pack scheduling: packAIdx:6, packBIdx:0 */
v_or_b32 v[vgprValuA_X3_I0+8], v[vgprValuA_X3_I0+8], v99 // pack two half Vgpr to one Vgpr
v_or_b32 v[vgprValuA_X3_I0+9], v[vgprValuA_X3_I0+9], v100 // pack two half Vgpr to one Vgpr
v_mfma_f32_32x32x8f16 a[32+0:47+0], v[vgprValuA_X3_I0+4+0+0:vgprValuA_X3_I0+4+0+0+1], v[vgprValuB_X2_I0+0+2+0:vgprValuB_X2_I0+0+2+0+1], a[32:47]
/*  mfmaIndex:18  */
_ds_load_u16_d16_hi v86, v[vgprLocalReadAddrA] offset:1088 // L -> Reg lro=0 swapByteOffset=0 ti=32 vIdx=2 rIdx=3 oIdx=0 buffer=0 iui=0
_ds_load_u16 v[vgprValuA_X0_I0+6], v[vgprLocalReadAddrA] offset:192 // L -> Reg lro=0 swapByteOffset=0 ti=32 vIdx=3 rIdx=0 oIdx=0 buffer=0 iui=0
_ds_load_u16_d16_hi v87, v[vgprLocalReadAddrA] offset:512 // L -> Reg lro=0 swapByteOffset=0 ti=32 vIdx=3 rIdx=1 oIdx=0 buffer=0 iui=0
_ds_load_u16 v[vgprValuA_X0_I0+7], v[vgprLocalReadAddrA] offset:832 // L -> Reg lro=0 swapByteOffset=0 ti=32 vIdx=3 rIdx=2 oIdx=0 buffer=0 iui=0
	;; [unrolled: 2-line block ×3, first 2 shown]
v_mfma_f32_32x32x8f16 a[48+0:63+0], v[vgprValuA_X3_I0+6+0+0:vgprValuA_X3_I0+6+0+0+1], v[vgprValuB_X2_I0+0+2+0:vgprValuB_X2_I0+0+2+0+1], a[48:63]
/*  mfmaIndex:19  */
_ds_load_u16_d16_hi v89, v[vgprLocalReadAddrA] offset:576 // L -> Reg lro=0 swapByteOffset=0 ti=32 vIdx=4 rIdx=1 oIdx=0 buffer=0 iui=0
_ds_load_u16 v[vgprValuA_X0_I0+9], v[vgprLocalReadAddrA] offset:896 // L -> Reg lro=0 swapByteOffset=0 ti=32 vIdx=4 rIdx=2 oIdx=0 buffer=0 iui=0
_ds_load_u16_d16_hi v90, v[vgprLocalReadAddrA] offset:1216 // L -> Reg lro=0 swapByteOffset=0 ti=32 vIdx=4 rIdx=3 oIdx=0 buffer=0 iui=0
v_mfma_f32_32x32x8f16 a[64+0:79+0], v[vgprValuA_X3_I0+8+0+0:vgprValuA_X3_I0+8+0+0+1], v[vgprValuB_X2_I0+0+2+0:vgprValuB_X2_I0+0+2+0+1], a[64:79]
/* numPrefetchIter=1 */
/* dataAtIterA=2 numReadsIterA=3 skipReadsIterA=1 readsPerIterA=20 */
/* dataAtIterB=0 numReadsIterB=1 skipReadsIterB=1 readsPerIterB=1 */


/******************************************/
/* Unrolled Loop - End                    */
/******************************************/


/* closeLoop loopL finalLoop=1 tailLoop=0 */
s_sub_u32 s[sgprLoopCounterL], s[sgprLoopCounterL], 1 // dec counterL
s_cmp_eq_i32 s[sgprLoopCounterL], 0x2              // counterL==2
s_cbranch_scc0 LoopBeginL_1                        // restart LoopL
LoopEndL_2:


/* Before NLL: Check VGPR.checkin for INT8 LW */


/******************************************/
/* Ord. NoGlobalLoadLoop - Begin                                      */
/******************************************/



/* iter 0 */

/*  grEndMfmaIndex:2, lwStartMfmaIndex:4, lwEndMfmaIndex:14  */
/*  numMfmaForLR:4, barrierMfmaIndex:15, LocalWritePerMfma:0.820 */
/*  mfmaIndex:0  */
s_waitcnt lgkmcnt(0)                               // lgkmcnt=0 vmcnt=-1wait for prior local read local write old=0, new=0 newLW=0 newLR=0
/* pack scheduling: packAIdx:2, packBIdx:0 */
v_or_b32 v[vgprValuA_X0_I0+0], v[vgprValuA_X0_I0+0], v81 // pack two half Vgpr to one Vgpr
v_or_b32 v[vgprValuA_X0_I0+1], v[vgprValuA_X0_I0+1], v82 // pack two half Vgpr to one Vgpr
	;; [unrolled: 1-line block ×4, first 2 shown]
v_mfma_f32_32x32x8f16 a[0+0:15+0], v[vgprValuA_X0_I0+0+0+0:vgprValuA_X0_I0+0+0+0+1], v[vgprValuB_X0_I0+0+0+0:vgprValuB_X0_I0+0+0+0+1], a[0:15]
/*  mfmaIndex:1  */
_ds_load_u16 v[vgprValuA_X1_I0+0], v[vgprLocalReadAddrA] offset:1280 // L -> Reg lro=640 swapByteOffset=0 ti=32 vIdx=0 rIdx=0 oIdx=0 buffer=1 iui=0
_ds_load_u16_d16_hi v91, v[vgprLocalReadAddrA] offset:1600 // L -> Reg lro=640 swapByteOffset=0 ti=32 vIdx=0 rIdx=1 oIdx=0 buffer=1 iui=0
_ds_load_u16 v[vgprValuA_X1_I0+1], v[vgprLocalReadAddrA] offset:1920 // L -> Reg lro=640 swapByteOffset=0 ti=32 vIdx=0 rIdx=2 oIdx=0 buffer=1 iui=0
_ds_load_u16_d16_hi v92, v[vgprLocalReadAddrA] offset:2240 // L -> Reg lro=640 swapByteOffset=0 ti=32 vIdx=0 rIdx=3 oIdx=0 buffer=1 iui=0
_ds_load_b128 v[vgprValuB_X2_I0+0:vgprValuB_X2_I0+0+3], v[vgprLocalReadAddrB] offset:32 // L -> Reg lro=16 swapByteOffset=0 ti=128 vIdx=0 rIdx=0 oIdx=0 buffer=2 iui=0
_ds_load_u16 v[vgprValuA_X1_I0+2], v[vgprLocalReadAddrA] offset:1344 // L -> Reg lro=640 swapByteOffset=0 ti=32 vIdx=1 rIdx=0 oIdx=0 buffer=1 iui=0

/* global read inc A loopL */
s_add_u32 s[sgprSrdA+0], s[sgprSrdA+0], s[sgprGlobalReadIncsA+0] // gra SRD += inc(lower)
s_addc_u32  s[sgprSrdA+1], s[sgprSrdA+1], 0        // gra SRD += inc(upper)
s_sub_u32 s[sgprShadowLimitA+0], s[sgprShadowLimitA+0], s[sgprGlobalReadIncsA+0] // limit -= inc)
s_subb_u32 s[sgprShadowLimitA+1], s[sgprShadowLimitA+1], 0 // limit -= inc)
s_cmp_eq_u32 s[sgprShadowLimitA+1], 0              // are we within 2^32?
s_cmov_b32 s[sgprSrdA+2], s[sgprShadowLimitA+0]    // Move shadow to real if we are within 2^32

/* global read inc B loopL */
s_add_u32 s[sgprSrdB+0], s[sgprSrdB+0], s[sgprGlobalReadIncsB+0] // gra SRD += inc(lower)
/* pack scheduling: packAIdx:4, packBIdx:0 */
v_or_b32 v[vgprValuA_X0_I0+4], v[vgprValuA_X0_I0+4], v85 // pack two half Vgpr to one Vgpr
v_or_b32 v[vgprValuA_X0_I0+5], v[vgprValuA_X0_I0+5], v86 // pack two half Vgpr to one Vgpr
	;; [unrolled: 1-line block ×4, first 2 shown]
v_mfma_f32_32x32x8f16 a[16+0:31+0], v[vgprValuA_X0_I0+2+0+0:vgprValuA_X0_I0+2+0+0+1], v[vgprValuB_X0_I0+0+0+0:vgprValuB_X0_I0+0+0+0+1], a[16:31]
/*  mfmaIndex:2  */
_ds_load_u16_d16_hi v93, v[vgprLocalReadAddrA] offset:1664 // L -> Reg lro=640 swapByteOffset=0 ti=32 vIdx=1 rIdx=1 oIdx=0 buffer=1 iui=0
_ds_load_u16 v[vgprValuA_X1_I0+3], v[vgprLocalReadAddrA] offset:1984 // L -> Reg lro=640 swapByteOffset=0 ti=32 vIdx=1 rIdx=2 oIdx=0 buffer=1 iui=0
_ds_load_u16_d16_hi v94, v[vgprLocalReadAddrA] offset:2304 // L -> Reg lro=640 swapByteOffset=0 ti=32 vIdx=1 rIdx=3 oIdx=0 buffer=1 iui=0
_ds_load_u16 v[vgprValuA_X1_I0+4], v[vgprLocalReadAddrA] offset:1408 // L -> Reg lro=640 swapByteOffset=0 ti=32 vIdx=2 rIdx=0 oIdx=0 buffer=1 iui=0
	;; [unrolled: 2-line block ×3, first 2 shown]
s_addc_u32  s[sgprSrdB+1], s[sgprSrdB+1], 0        // gra SRD += inc(upper)
s_sub_u32 s[sgprShadowLimitB+0], s[sgprShadowLimitB+0], s[sgprGlobalReadIncsB+0] // limit -= inc)
s_subb_u32 s[sgprShadowLimitB+1], s[sgprShadowLimitB+1], 0 // limit -= inc)
s_cmp_eq_u32 s[sgprShadowLimitB+1], 0              // are we within 2^32?
s_cmov_b32 s[sgprSrdB+2], s[sgprShadowLimitB+0]    // Move shadow to real if we are within 2^32
/* pack scheduling: packAIdx:6, packBIdx:0 */
v_or_b32 v[vgprValuA_X0_I0+8], v[vgprValuA_X0_I0+8], v89 // pack two half Vgpr to one Vgpr
v_or_b32 v[vgprValuA_X0_I0+9], v[vgprValuA_X0_I0+9], v90 // pack two half Vgpr to one Vgpr
v_mfma_f32_32x32x8f16 a[32+0:47+0], v[vgprValuA_X0_I0+4+0+0:vgprValuA_X0_I0+4+0+0+1], v[vgprValuB_X0_I0+0+0+0:vgprValuB_X0_I0+0+0+0+1], a[32:47]
/*  mfmaIndex:3  */
_ds_load_u16_d16_hi v96, v[vgprLocalReadAddrA] offset:2368 // L -> Reg lro=640 swapByteOffset=0 ti=32 vIdx=2 rIdx=3 oIdx=0 buffer=1 iui=0
_ds_load_u16 v[vgprValuA_X1_I0+6], v[vgprLocalReadAddrA] offset:1472 // L -> Reg lro=640 swapByteOffset=0 ti=32 vIdx=3 rIdx=0 oIdx=0 buffer=1 iui=0
_ds_load_u16_d16_hi v97, v[vgprLocalReadAddrA] offset:1792 // L -> Reg lro=640 swapByteOffset=0 ti=32 vIdx=3 rIdx=1 oIdx=0 buffer=1 iui=0
_ds_load_u16 v[vgprValuA_X1_I0+7], v[vgprLocalReadAddrA] offset:2112 // L -> Reg lro=640 swapByteOffset=0 ti=32 vIdx=3 rIdx=2 oIdx=0 buffer=1 iui=0
_ds_load_u16_d16_hi v98, v[vgprLocalReadAddrA] offset:2432 // L -> Reg lro=640 swapByteOffset=0 ti=32 vIdx=3 rIdx=3 oIdx=0 buffer=1 iui=0
_ds_load_u16 v[vgprValuA_X1_I0+8], v[vgprLocalReadAddrA] offset:1536 // L -> Reg lro=640 swapByteOffset=0 ti=32 vIdx=4 rIdx=0 oIdx=0 buffer=1 iui=0
v_mfma_f32_32x32x8f16 a[48+0:63+0], v[vgprValuA_X0_I0+6+0+0:vgprValuA_X0_I0+6+0+0+1], v[vgprValuB_X0_I0+0+0+0:vgprValuB_X0_I0+0+0+0+1], a[48:63]
/*  mfmaIndex:4  */
_ds_load_u16_d16_hi v99, v[vgprLocalReadAddrA] offset:1856 // L -> Reg lro=640 swapByteOffset=0 ti=32 vIdx=4 rIdx=1 oIdx=0 buffer=1 iui=0
_ds_load_u16 v[vgprValuA_X1_I0+9], v[vgprLocalReadAddrA] offset:2176 // L -> Reg lro=640 swapByteOffset=0 ti=32 vIdx=4 rIdx=2 oIdx=0 buffer=1 iui=0
_ds_load_u16_d16_hi v100, v[vgprLocalReadAddrA] offset:2496 // L -> Reg lro=640 swapByteOffset=0 ti=32 vIdx=4 rIdx=3 oIdx=0 buffer=1 iui=0
/* localReadsVacancy: latencyLeft 1 */
/* sched write - iter 0 writesPerItem=1 */
s_waitcnt vmcnt(0)                                 // lgkmcnt=-1 vmcnt=0wait for global read before writing to local
_ds_store_b64 v[vgprLocalWriteAddrA], v[vgprG2LA+0:vgprG2LA+0+1] offset:0 // lwoA_0_0_0_0 = (0*LSCA) + (0*LSPA)(*MT0I+PAD) = 0
v_mfma_f32_32x32x8f16 a[64+0:79+0], v[vgprValuA_X0_I0+8+0+0:vgprValuA_X0_I0+8+0+0+1], v[vgprValuB_X0_I0+0+0+0:vgprValuB_X0_I0+0+0+0+1], a[64:79]
/* numPrefetchIter=0 */
/* dataAtIterA=-1 numReadsIterA=1 skipReadsIterA=1 readsPerIterA=20 */
/* dataAtIterB=-1 numReadsIterB=1 skipReadsIterB=1 readsPerIterB=1 */


/* iter 1 */

/*  grEndMfmaIndex:2, lwStartMfmaIndex:4, lwEndMfmaIndex:14  */
/*  numMfmaForLR:4, barrierMfmaIndex:15, LocalWritePerMfma:0.820 */
/*  mfmaIndex:5  */
_ds_load_u16 v[vgprValuA_X2_I0+0], v[vgprLocalReadAddrA] offset:5120 // L -> Reg lro=2560 swapByteOffset=0 ti=32 vIdx=0 rIdx=0 oIdx=0 buffer=2 iui=0
_ds_load_u16_d16_hi v81, v[vgprLocalReadAddrA] offset:5440 // L -> Reg lro=2560 swapByteOffset=0 ti=32 vIdx=0 rIdx=1 oIdx=0 buffer=2 iui=0
_ds_load_u16 v[vgprValuA_X2_I0+1], v[vgprLocalReadAddrA] offset:5760 // L -> Reg lro=2560 swapByteOffset=0 ti=32 vIdx=0 rIdx=2 oIdx=0 buffer=2 iui=0
_ds_load_u16_d16_hi v82, v[vgprLocalReadAddrA] offset:6080 // L -> Reg lro=2560 swapByteOffset=0 ti=32 vIdx=0 rIdx=3 oIdx=0 buffer=2 iui=0
/* sched write - iter 1 writesPerItem=1 */
s_waitcnt vmcnt(0)                                 // lgkmcnt=-1 vmcnt=0wait for global read before writing to local
_ds_store_b64 v[vgprLocalWriteAddrA], v[vgprG2LA+2:vgprG2LA+2+1] offset:64 // lwoA_1_0_0_0 = (1*LSCA) + (0*LSPA)(*MT0I+PAD) = 64
s_waitcnt lgkmcnt(6)                               // lgkmcnt=0 vmcnt=-1wait for prior local read local write old=0, new=6 newLW=2 newLR=4
/* pack scheduling: packAIdx:2, packBIdx:0 */
v_or_b32 v[vgprValuA_X1_I0+0], v[vgprValuA_X1_I0+0], v91 // pack two half Vgpr to one Vgpr
v_or_b32 v[vgprValuA_X1_I0+1], v[vgprValuA_X1_I0+1], v92 // pack two half Vgpr to one Vgpr
	;; [unrolled: 1-line block ×4, first 2 shown]
v_mfma_f32_32x32x8f16 a[0+0:15+0], v[vgprValuA_X1_I0+0+0+0:vgprValuA_X1_I0+0+0+0+1], v[vgprValuB_X0_I0+0+2+0:vgprValuB_X0_I0+0+2+0+1], a[0:15]
/*  mfmaIndex:6  */
_ds_load_u16 v[vgprValuA_X2_I0+2], v[vgprLocalReadAddrA] offset:5184 // L -> Reg lro=2560 swapByteOffset=0 ti=32 vIdx=1 rIdx=0 oIdx=0 buffer=2 iui=0
_ds_load_u16_d16_hi v83, v[vgprLocalReadAddrA] offset:5504 // L -> Reg lro=2560 swapByteOffset=0 ti=32 vIdx=1 rIdx=1 oIdx=0 buffer=2 iui=0
_ds_load_u16 v[vgprValuA_X2_I0+3], v[vgprLocalReadAddrA] offset:5824 // L -> Reg lro=2560 swapByteOffset=0 ti=32 vIdx=1 rIdx=2 oIdx=0 buffer=2 iui=0
_ds_load_u16_d16_hi v84, v[vgprLocalReadAddrA] offset:6144 // L -> Reg lro=2560 swapByteOffset=0 ti=32 vIdx=1 rIdx=3 oIdx=0 buffer=2 iui=0
/* sched write - iter 1 writesPerItem=1 */
s_waitcnt vmcnt(0)                                 // lgkmcnt=-1 vmcnt=0wait for global read before writing to local
_ds_store_b64 v[vgprLocalWriteAddrA], v[vgprG2LA+4:vgprG2LA+4+1] offset:128 // lwoA_2_0_0_0 = (2*LSCA) + (0*LSPA)(*MT0I+PAD) = 128
/* pack scheduling: packAIdx:4, packBIdx:0 */
v_or_b32 v[vgprValuA_X1_I0+4], v[vgprValuA_X1_I0+4], v95 // pack two half Vgpr to one Vgpr
v_or_b32 v[vgprValuA_X1_I0+5], v[vgprValuA_X1_I0+5], v96 // pack two half Vgpr to one Vgpr
	;; [unrolled: 1-line block ×4, first 2 shown]
v_mfma_f32_32x32x8f16 a[16+0:31+0], v[vgprValuA_X1_I0+2+0+0:vgprValuA_X1_I0+2+0+0+1], v[vgprValuB_X0_I0+0+2+0:vgprValuB_X0_I0+0+2+0+1], a[16:31]
/*  mfmaIndex:7  */
_ds_load_u16 v[vgprValuA_X2_I0+4], v[vgprLocalReadAddrA] offset:5248 // L -> Reg lro=2560 swapByteOffset=0 ti=32 vIdx=2 rIdx=0 oIdx=0 buffer=2 iui=0
_ds_load_u16_d16_hi v85, v[vgprLocalReadAddrA] offset:5568 // L -> Reg lro=2560 swapByteOffset=0 ti=32 vIdx=2 rIdx=1 oIdx=0 buffer=2 iui=0
_ds_load_u16 v[vgprValuA_X2_I0+5], v[vgprLocalReadAddrA] offset:5888 // L -> Reg lro=2560 swapByteOffset=0 ti=32 vIdx=2 rIdx=2 oIdx=0 buffer=2 iui=0
_ds_load_u16_d16_hi v86, v[vgprLocalReadAddrA] offset:6208 // L -> Reg lro=2560 swapByteOffset=0 ti=32 vIdx=2 rIdx=3 oIdx=0 buffer=2 iui=0
/* sched write - iter 1 writesPerItem=1 */
s_waitcnt vmcnt(0)                                 // lgkmcnt=-1 vmcnt=0wait for global read before writing to local
_ds_store_b64 v[vgprLocalWriteAddrA], v[vgprG2LA+6:vgprG2LA+6+1] offset:192 // lwoA_3_0_0_0 = (3*LSCA) + (0*LSPA)(*MT0I+PAD) = 192
/* pack scheduling: packAIdx:6, packBIdx:0 */
v_or_b32 v[vgprValuA_X1_I0+8], v[vgprValuA_X1_I0+8], v99 // pack two half Vgpr to one Vgpr
v_or_b32 v[vgprValuA_X1_I0+9], v[vgprValuA_X1_I0+9], v100 // pack two half Vgpr to one Vgpr
v_mfma_f32_32x32x8f16 a[32+0:47+0], v[vgprValuA_X1_I0+4+0+0:vgprValuA_X1_I0+4+0+0+1], v[vgprValuB_X0_I0+0+2+0:vgprValuB_X0_I0+0+2+0+1], a[32:47]
/*  mfmaIndex:8  */
_ds_load_u16 v[vgprValuA_X2_I0+6], v[vgprLocalReadAddrA] offset:5312 // L -> Reg lro=2560 swapByteOffset=0 ti=32 vIdx=3 rIdx=0 oIdx=0 buffer=2 iui=0
_ds_load_u16_d16_hi v87, v[vgprLocalReadAddrA] offset:5632 // L -> Reg lro=2560 swapByteOffset=0 ti=32 vIdx=3 rIdx=1 oIdx=0 buffer=2 iui=0
_ds_load_u16 v[vgprValuA_X2_I0+7], v[vgprLocalReadAddrA] offset:5952 // L -> Reg lro=2560 swapByteOffset=0 ti=32 vIdx=3 rIdx=2 oIdx=0 buffer=2 iui=0
_ds_load_u16_d16_hi v88, v[vgprLocalReadAddrA] offset:6272 // L -> Reg lro=2560 swapByteOffset=0 ti=32 vIdx=3 rIdx=3 oIdx=0 buffer=2 iui=0
/* sched write - iter 1 writesPerItem=1 */
s_waitcnt vmcnt(0)                                 // lgkmcnt=-1 vmcnt=0wait for global read before writing to local
_ds_store_b64 v[vgprLocalWriteAddrA], v[vgprG2LA+8:vgprG2LA+8+1] offset:256 // lwoA_4_0_0_0 = (4*LSCA) + (0*LSPA)(*MT0I+PAD) = 256
v_mfma_f32_32x32x8f16 a[48+0:63+0], v[vgprValuA_X1_I0+6+0+0:vgprValuA_X1_I0+6+0+0+1], v[vgprValuB_X0_I0+0+2+0:vgprValuB_X0_I0+0+2+0+1], a[48:63]
/*  mfmaIndex:9  */
_ds_load_u16 v[vgprValuA_X2_I0+8], v[vgprLocalReadAddrA] offset:5376 // L -> Reg lro=2560 swapByteOffset=0 ti=32 vIdx=4 rIdx=0 oIdx=0 buffer=2 iui=0
_ds_load_u16_d16_hi v89, v[vgprLocalReadAddrA] offset:5696 // L -> Reg lro=2560 swapByteOffset=0 ti=32 vIdx=4 rIdx=1 oIdx=0 buffer=2 iui=0
_ds_load_u16 v[vgprValuA_X2_I0+9], v[vgprLocalReadAddrA] offset:6016 // L -> Reg lro=2560 swapByteOffset=0 ti=32 vIdx=4 rIdx=2 oIdx=0 buffer=2 iui=0
_ds_load_u16_d16_hi v90, v[vgprLocalReadAddrA] offset:6336 // L -> Reg lro=2560 swapByteOffset=0 ti=32 vIdx=4 rIdx=3 oIdx=0 buffer=2 iui=0
/* localReadsVacancy: latencyLeft 5 */
_ds_load_u16 v[vgprValuA_X3_I0+0], v[vgprLocalReadAddrA] offset:6400 // L -> Reg lro=3200 swapByteOffset=0 ti=32 vIdx=0 rIdx=0 oIdx=0 buffer=3 iui=0
_ds_load_u16 v[vgprValuA_X3_I0+1], v[vgprLocalReadAddrA] offset:7040 // L -> Reg lro=3200 swapByteOffset=0 ti=32 vIdx=0 rIdx=2 oIdx=0 buffer=3 iui=0
v_mfma_f32_32x32x8f16 a[64+0:79+0], v[vgprValuA_X1_I0+8+0+0:vgprValuA_X1_I0+8+0+0+1], v[vgprValuB_X0_I0+0+2+0:vgprValuB_X0_I0+0+2+0+1], a[64:79]
/* numPrefetchIter=0 */
/* dataAtIterA=0 numReadsIterA=2 skipReadsIterA=1 readsPerIterA=20 */
/* dataAtIterB=-1 numReadsIterB=1 skipReadsIterB=0 readsPerIterB=1 */


/* iter 2 (reset local read pointers iteration)  (swap and reset local write pointers iteration)  (swap local read pointers iteration)  */

/*  grEndMfmaIndex:2, lwStartMfmaIndex:4, lwEndMfmaIndex:14  */
/*  numMfmaForLR:4, barrierMfmaIndex:15, LocalWritePerMfma:0.820 */
/*  mfmaIndex:10  */
_ds_load_u16_d16_hi v91, v[vgprLocalReadAddrA] offset:6720 // L -> Reg lro=3200 swapByteOffset=0 ti=32 vIdx=0 rIdx=1 oIdx=0 buffer=3 iui=0
_ds_load_u16_d16_hi v92, v[vgprLocalReadAddrA] offset:7360 // L -> Reg lro=3200 swapByteOffset=0 ti=32 vIdx=0 rIdx=3 oIdx=0 buffer=3 iui=0
_ds_load_u16 v[vgprValuA_X3_I0+2], v[vgprLocalReadAddrA] offset:6464 // L -> Reg lro=3200 swapByteOffset=0 ti=32 vIdx=1 rIdx=0 oIdx=0 buffer=3 iui=0
_ds_load_u16_d16_hi v93, v[vgprLocalReadAddrA] offset:6784 // L -> Reg lro=3200 swapByteOffset=0 ti=32 vIdx=1 rIdx=1 oIdx=0 buffer=3 iui=0
/* sched write - iter 2 writesPerItem=1 */
s_waitcnt vmcnt(0)                                 // lgkmcnt=-1 vmcnt=0wait for global read before writing to local
_ds_store_b64 v[vgprLocalWriteAddrB], v[vgprG2LB+0:vgprG2LB+0+1] offset:0 // lwoB_0_0_0_0 = (0*LSCB)*(MT1J+PAD) + (0*LSPB) = 0
s_waitcnt lgkmcnt(7)                               // lgkmcnt=0 vmcnt=-1wait for prior local read local write old=2, new=7 newLW=1 newLR=4
/* pack scheduling: packAIdx:2, packBIdx:0 */
v_or_b32 v[vgprValuA_X2_I0+0], v[vgprValuA_X2_I0+0], v81 // pack two half Vgpr to one Vgpr
v_or_b32 v[vgprValuA_X2_I0+1], v[vgprValuA_X2_I0+1], v82 // pack two half Vgpr to one Vgpr
	;; [unrolled: 1-line block ×4, first 2 shown]
v_mfma_f32_32x32x8f16 a[0+0:15+0], v[vgprValuA_X2_I0+0+0+0:vgprValuA_X2_I0+0+0+0+1], v[vgprValuB_X2_I0+0+0+0:vgprValuB_X2_I0+0+0+0+1], a[0:15]
/*  mfmaIndex:11  */
_ds_load_u16 v[vgprValuA_X3_I0+3], v[vgprLocalReadAddrA] offset:7104 // L -> Reg lro=3200 swapByteOffset=0 ti=32 vIdx=1 rIdx=2 oIdx=0 buffer=3 iui=0
_ds_load_u16_d16_hi v94, v[vgprLocalReadAddrA] offset:7424 // L -> Reg lro=3200 swapByteOffset=0 ti=32 vIdx=1 rIdx=3 oIdx=0 buffer=3 iui=0
_ds_load_u16 v[vgprValuA_X3_I0+4], v[vgprLocalReadAddrA] offset:6528 // L -> Reg lro=3200 swapByteOffset=0 ti=32 vIdx=2 rIdx=0 oIdx=0 buffer=3 iui=0
_ds_load_u16_d16_hi v95, v[vgprLocalReadAddrA] offset:6848 // L -> Reg lro=3200 swapByteOffset=0 ti=32 vIdx=2 rIdx=1 oIdx=0 buffer=3 iui=0
/* sched write - iter 2 writesPerItem=1 */
s_waitcnt vmcnt(0)                                 // lgkmcnt=-1 vmcnt=0wait for global read before writing to local
_ds_store_b64 v[vgprLocalWriteAddrB], v[vgprG2LB+2:vgprG2LB+2+1] offset:576 // lwoB_0_0_1_0 = (0*LSCB)*(MT1J+PAD) + (1*LSPB) = 576
/* pack scheduling: packAIdx:4, packBIdx:0 */
v_or_b32 v[vgprValuA_X2_I0+4], v[vgprValuA_X2_I0+4], v85 // pack two half Vgpr to one Vgpr
v_or_b32 v[vgprValuA_X2_I0+5], v[vgprValuA_X2_I0+5], v86 // pack two half Vgpr to one Vgpr
	;; [unrolled: 1-line block ×4, first 2 shown]
v_mfma_f32_32x32x8f16 a[16+0:31+0], v[vgprValuA_X2_I0+2+0+0:vgprValuA_X2_I0+2+0+0+1], v[vgprValuB_X2_I0+0+0+0:vgprValuB_X2_I0+0+0+0+1], a[16:31]
/*  mfmaIndex:12  */
_ds_load_u16 v[vgprValuA_X3_I0+5], v[vgprLocalReadAddrA] offset:7168 // L -> Reg lro=3200 swapByteOffset=0 ti=32 vIdx=2 rIdx=2 oIdx=0 buffer=3 iui=0
_ds_load_u16_d16_hi v96, v[vgprLocalReadAddrA] offset:7488 // L -> Reg lro=3200 swapByteOffset=0 ti=32 vIdx=2 rIdx=3 oIdx=0 buffer=3 iui=0
_ds_load_u16 v[vgprValuA_X3_I0+6], v[vgprLocalReadAddrA] offset:6592 // L -> Reg lro=3200 swapByteOffset=0 ti=32 vIdx=3 rIdx=0 oIdx=0 buffer=3 iui=0
_ds_load_u16_d16_hi v97, v[vgprLocalReadAddrA] offset:6912 // L -> Reg lro=3200 swapByteOffset=0 ti=32 vIdx=3 rIdx=1 oIdx=0 buffer=3 iui=0
/* sched write - iter 2 writesPerItem=1 */
s_waitcnt vmcnt(0)                                 // lgkmcnt=-1 vmcnt=0wait for global read before writing to local
_ds_store_b64 v[vgprLocalWriteAddrB], v[vgprG2LB+4:vgprG2LB+4+1] offset:1152 // lwoB_0_0_2_0 = (0*LSCB)*(MT1J+PAD) + (2*LSPB) = 1152
/* pack scheduling: packAIdx:6, packBIdx:0 */
v_or_b32 v[vgprValuA_X2_I0+8], v[vgprValuA_X2_I0+8], v89 // pack two half Vgpr to one Vgpr
v_or_b32 v[vgprValuA_X2_I0+9], v[vgprValuA_X2_I0+9], v90 // pack two half Vgpr to one Vgpr
v_mfma_f32_32x32x8f16 a[32+0:47+0], v[vgprValuA_X2_I0+4+0+0:vgprValuA_X2_I0+4+0+0+1], v[vgprValuB_X2_I0+0+0+0:vgprValuB_X2_I0+0+0+0+1], a[32:47]
/*  mfmaIndex:13  */
_ds_load_u16 v[vgprValuA_X3_I0+7], v[vgprLocalReadAddrA] offset:7232 // L -> Reg lro=3200 swapByteOffset=0 ti=32 vIdx=3 rIdx=2 oIdx=0 buffer=3 iui=0
_ds_load_u16_d16_hi v98, v[vgprLocalReadAddrA] offset:7552 // L -> Reg lro=3200 swapByteOffset=0 ti=32 vIdx=3 rIdx=3 oIdx=0 buffer=3 iui=0
_ds_load_u16 v[vgprValuA_X3_I0+8], v[vgprLocalReadAddrA] offset:6656 // L -> Reg lro=3200 swapByteOffset=0 ti=32 vIdx=4 rIdx=0 oIdx=0 buffer=3 iui=0
/* sched write - iter 2 writesPerItem=1 */
s_waitcnt vmcnt(0)                                 // lgkmcnt=-1 vmcnt=0wait for global read before writing to local
_ds_store_b64 v[vgprLocalWriteAddrB], v[vgprG2LB+6:vgprG2LB+6+1] offset:1728 // lwoB_0_0_3_0 = (0*LSCB)*(MT1J+PAD) + (3*LSPB) = 1728
v_mfma_f32_32x32x8f16 a[48+0:63+0], v[vgprValuA_X2_I0+6+0+0:vgprValuA_X2_I0+6+0+0+1], v[vgprValuB_X2_I0+0+0+0:vgprValuB_X2_I0+0+0+0+1], a[48:63]
/*  mfmaIndex:14  */
_ds_load_u16_d16_hi v99, v[vgprLocalReadAddrA] offset:6976 // L -> Reg lro=3200 swapByteOffset=0 ti=32 vIdx=4 rIdx=1 oIdx=0 buffer=3 iui=0
_ds_load_u16 v[vgprValuA_X3_I0+9], v[vgprLocalReadAddrA] offset:7296 // L -> Reg lro=3200 swapByteOffset=0 ti=32 vIdx=4 rIdx=2 oIdx=0 buffer=3 iui=0
_ds_load_u16_d16_hi v100, v[vgprLocalReadAddrA] offset:7616 // L -> Reg lro=3200 swapByteOffset=0 ti=32 vIdx=4 rIdx=3 oIdx=0 buffer=3 iui=0
/* localReadsVacancy: latencyLeft 7 */

/* local write swap offsets a */
v_xor_b32 v[vgprLocalWriteAddrA+0], 0x8000, v[vgprLocalWriteAddrA+0] // swap Red Blk

/* local write swap offsets b */
v_xor_b32 v[vgprLocalWriteAddrB+0], 0x8000, v[vgprLocalWriteAddrB+0] // swap Red Blk

/* local read swap offsets a */
v_xor_b32 v[vgprLocalReadAddrA], 0x8000, v[vgprLocalReadAddrA] // swap Red Blk

/* local read swap offsets b */
v_xor_b32 v[vgprLocalReadAddrB], 0x8000, v[vgprLocalReadAddrB] // swap Red Blk

/* local read init pointers a */

/* localReadInitPointers */

/* local read init pointers b */

/* localReadInitPointers */
v_mfma_f32_32x32x8f16 a[64+0:79+0], v[vgprValuA_X2_I0+8+0+0:vgprValuA_X2_I0+8+0+0+1], v[vgprValuB_X2_I0+0+0+0:vgprValuB_X2_I0+0+0+0+1], a[64:79]
/* numPrefetchIter=0 */
/* dataAtIterA=1 numReadsIterA=3 skipReadsIterA=1 readsPerIterA=20 */
/* dataAtIterB=0 numReadsIterB=1 skipReadsIterB=0 readsPerIterB=1 */


/* iter 3 */

/*  grEndMfmaIndex:2, lwStartMfmaIndex:4, lwEndMfmaIndex:14  */
/*  numMfmaForLR:4, barrierMfmaIndex:15, LocalWritePerMfma:0.820 */
/*  mfmaIndex:15  */
s_waitcnt lgkmcnt(0)                               // lgkmcnt=0 vmcnt=-13wait for local write
// Skip force waitcnt0
s_barrier //
s_waitcnt lgkmcnt(0)                               // lgkmcnt=0 vmcnt=-1wait for prior local read local write old=0, new=0 newLW=0 newLR=0
/* pack scheduling: packAIdx:2, packBIdx:0 */
v_or_b32 v[vgprValuA_X3_I0+0], v[vgprValuA_X3_I0+0], v91 // pack two half Vgpr to one Vgpr
v_or_b32 v[vgprValuA_X3_I0+1], v[vgprValuA_X3_I0+1], v92 // pack two half Vgpr to one Vgpr
	;; [unrolled: 1-line block ×4, first 2 shown]
v_mfma_f32_32x32x8f16 a[0+0:15+0], v[vgprValuA_X3_I0+0+0+0:vgprValuA_X3_I0+0+0+0+1], v[vgprValuB_X2_I0+0+2+0:vgprValuB_X2_I0+0+2+0+1], a[0:15]
/*  mfmaIndex:16  */
_ds_load_u16 v[vgprValuA_X0_I0+0], v[vgprLocalReadAddrA] offset:0 // L -> Reg lro=0 swapByteOffset=0 ti=32 vIdx=0 rIdx=0 oIdx=0 buffer=0 iui=0
_ds_load_u16_d16_hi v81, v[vgprLocalReadAddrA] offset:320 // L -> Reg lro=0 swapByteOffset=0 ti=32 vIdx=0 rIdx=1 oIdx=0 buffer=0 iui=0
_ds_load_u16 v[vgprValuA_X0_I0+1], v[vgprLocalReadAddrA] offset:640 // L -> Reg lro=0 swapByteOffset=0 ti=32 vIdx=0 rIdx=2 oIdx=0 buffer=0 iui=0
_ds_load_u16_d16_hi v82, v[vgprLocalReadAddrA] offset:960 // L -> Reg lro=0 swapByteOffset=0 ti=32 vIdx=0 rIdx=3 oIdx=0 buffer=0 iui=0
_ds_load_b128 v[vgprValuB_X0_I0+0:vgprValuB_X0_I0+0+3], v[vgprLocalReadAddrB] offset:0 // L -> Reg lro=0 swapByteOffset=0 ti=128 vIdx=0 rIdx=0 oIdx=0 buffer=0 iui=0
_ds_load_u16 v[vgprValuA_X0_I0+2], v[vgprLocalReadAddrA] offset:64 // L -> Reg lro=0 swapByteOffset=0 ti=32 vIdx=1 rIdx=0 oIdx=0 buffer=0 iui=0
/* pack scheduling: packAIdx:4, packBIdx:0 */
v_or_b32 v[vgprValuA_X3_I0+4], v[vgprValuA_X3_I0+4], v95 // pack two half Vgpr to one Vgpr
v_or_b32 v[vgprValuA_X3_I0+5], v[vgprValuA_X3_I0+5], v96 // pack two half Vgpr to one Vgpr
	;; [unrolled: 1-line block ×4, first 2 shown]
v_mfma_f32_32x32x8f16 a[16+0:31+0], v[vgprValuA_X3_I0+2+0+0:vgprValuA_X3_I0+2+0+0+1], v[vgprValuB_X2_I0+0+2+0:vgprValuB_X2_I0+0+2+0+1], a[16:31]
/*  mfmaIndex:17  */
_ds_load_u16_d16_hi v83, v[vgprLocalReadAddrA] offset:384 // L -> Reg lro=0 swapByteOffset=0 ti=32 vIdx=1 rIdx=1 oIdx=0 buffer=0 iui=0
_ds_load_u16 v[vgprValuA_X0_I0+3], v[vgprLocalReadAddrA] offset:704 // L -> Reg lro=0 swapByteOffset=0 ti=32 vIdx=1 rIdx=2 oIdx=0 buffer=0 iui=0
_ds_load_u16_d16_hi v84, v[vgprLocalReadAddrA] offset:1024 // L -> Reg lro=0 swapByteOffset=0 ti=32 vIdx=1 rIdx=3 oIdx=0 buffer=0 iui=0
_ds_load_u16 v[vgprValuA_X0_I0+4], v[vgprLocalReadAddrA] offset:128 // L -> Reg lro=0 swapByteOffset=0 ti=32 vIdx=2 rIdx=0 oIdx=0 buffer=0 iui=0
	;; [unrolled: 2-line block ×3, first 2 shown]
/* pack scheduling: packAIdx:6, packBIdx:0 */
v_or_b32 v[vgprValuA_X3_I0+8], v[vgprValuA_X3_I0+8], v99 // pack two half Vgpr to one Vgpr
v_or_b32 v[vgprValuA_X3_I0+9], v[vgprValuA_X3_I0+9], v100 // pack two half Vgpr to one Vgpr
v_mfma_f32_32x32x8f16 a[32+0:47+0], v[vgprValuA_X3_I0+4+0+0:vgprValuA_X3_I0+4+0+0+1], v[vgprValuB_X2_I0+0+2+0:vgprValuB_X2_I0+0+2+0+1], a[32:47]
/*  mfmaIndex:18  */
_ds_load_u16_d16_hi v86, v[vgprLocalReadAddrA] offset:1088 // L -> Reg lro=0 swapByteOffset=0 ti=32 vIdx=2 rIdx=3 oIdx=0 buffer=0 iui=0
_ds_load_u16 v[vgprValuA_X0_I0+6], v[vgprLocalReadAddrA] offset:192 // L -> Reg lro=0 swapByteOffset=0 ti=32 vIdx=3 rIdx=0 oIdx=0 buffer=0 iui=0
_ds_load_u16_d16_hi v87, v[vgprLocalReadAddrA] offset:512 // L -> Reg lro=0 swapByteOffset=0 ti=32 vIdx=3 rIdx=1 oIdx=0 buffer=0 iui=0
_ds_load_u16 v[vgprValuA_X0_I0+7], v[vgprLocalReadAddrA] offset:832 // L -> Reg lro=0 swapByteOffset=0 ti=32 vIdx=3 rIdx=2 oIdx=0 buffer=0 iui=0
	;; [unrolled: 2-line block ×3, first 2 shown]
v_mfma_f32_32x32x8f16 a[48+0:63+0], v[vgprValuA_X3_I0+6+0+0:vgprValuA_X3_I0+6+0+0+1], v[vgprValuB_X2_I0+0+2+0:vgprValuB_X2_I0+0+2+0+1], a[48:63]
/*  mfmaIndex:19  */
_ds_load_u16_d16_hi v89, v[vgprLocalReadAddrA] offset:576 // L -> Reg lro=0 swapByteOffset=0 ti=32 vIdx=4 rIdx=1 oIdx=0 buffer=0 iui=0
_ds_load_u16 v[vgprValuA_X0_I0+9], v[vgprLocalReadAddrA] offset:896 // L -> Reg lro=0 swapByteOffset=0 ti=32 vIdx=4 rIdx=2 oIdx=0 buffer=0 iui=0
_ds_load_u16_d16_hi v90, v[vgprLocalReadAddrA] offset:1216 // L -> Reg lro=0 swapByteOffset=0 ti=32 vIdx=4 rIdx=3 oIdx=0 buffer=0 iui=0
v_mfma_f32_32x32x8f16 a[64+0:79+0], v[vgprValuA_X3_I0+8+0+0:vgprValuA_X3_I0+8+0+0+1], v[vgprValuB_X2_I0+0+2+0:vgprValuB_X2_I0+0+2+0+1], a[64:79]
/* numPrefetchIter=1 */
/* dataAtIterA=2 numReadsIterA=3 skipReadsIterA=1 readsPerIterA=20 */
/* dataAtIterB=0 numReadsIterB=1 skipReadsIterB=1 readsPerIterB=1 */

label_0014:


/******************************************/
/* Opt. NoLoadLoop Without PAP - Begin                                      */
/******************************************/

s_cmpk_eq_u32 s[sgprBeta], 0x0                     // Beta == 0
s_cbranch_scc0 OptNLL_End_16                       // Branch if Beta is not zero

s_cmp_eq_u32 s[sgprAlpha], 1.0                     // Alpha == 1.0 ?
s_cbranch_scc0 OptNLL_End_16                       // branch if alpha != 1

s_mov_b32 s35, 0x0                                 // STATIC_DIV: divisior=160
s_mul_i32 s34, 0x333, s[sgprSizeI]                 // tmp1 = dividend * magic hi
s_lshl_b64 s[34:35], s[34:35], 0x10                // left shift 16 bits
s_mul_i32 s33, s[sgprSizeI], 0x3334                // tmp0 = dividend * magic lo
s_add_u32 s34, s33, s34                            // add lo
s_addc_u32 s35, s35, 0x0                           // add hi
s_lshr_b64 s[34:35], s[34:35], 0x21                // tmp1 = (dividend * magic) << shift
s_mov_b32 s33, s34                                 // quotient
s_mul_i32 s34, s33, 0xa0                           // quotient*divisor
s_sub_u32 s32, s[sgprSizeI], s34                   // rReg = dividend - quotient*divisor
s_add_u32 s33, -0x1, s[sgprNumWorkGroups0]         // 
s_cmp_ge_u32 s[sgprWorkGroup0], s33                // wg0 >= nwg0-1 ?
s_cselect_b32 s32, s32, 0                          // set rMT0
s_cmpk_gt_u32 s32, 0x0                             // rMT0 > 0
s_cbranch_scc1 OptNLL_End_16                       // jump if edges required
s_and_b32 s32, 127, s[sgprSizeJ]                   // s32 = s[sgprSizeJ] % 128
s_add_u32 s33, -0x1, s[sgprNumWorkGroups1]         // 
s_cmp_ge_u32 s[sgprWorkGroup1], s33                // wg1 >= nwg1-1
s_cselect_b32 s32, s32, 0                          // set rMT1
s_cmpk_gt_u32 s32, 0x0                             // rMT1 > 0
s_cbranch_scc1 OptNLL_End_16                       // jump if edges required

s_and_b32 s33, 31, s[sgprSizesSum+0]               // s33 = s[sgprSizesSum+0] % 32
s_cmp_eq_u32 s33, 0x0                              // numIterL == 0
s_cbranch_scc0 OptNLL_End_16                       // skip if tail loop required


	;; [unrolled: 1-line block ×3, first 2 shown]
/* iter 0 (last unrolled loop) */

/*  grEndMfmaIndex:0, lwStartMfmaIndex:14, lwEndMfmaIndex:14  */
/*  numMfmaForLR:4, barrierMfmaIndex:15, LocalWritePerMfma:0.820 */
/*  mfmaIndex:0  */
s_waitcnt lgkmcnt(0)                               // lgkmcnt=0 vmcnt=-1wait for prior local read local write old=0, new=0 newLW=0 newLR=0
/* pack scheduling: packAIdx:2, packBIdx:0 */
v_or_b32 v[vgprValuA_X0_I0+0], v[vgprValuA_X0_I0+0], v81 // pack two half Vgpr to one Vgpr
v_or_b32 v[vgprValuA_X0_I0+1], v[vgprValuA_X0_I0+1], v82 // pack two half Vgpr to one Vgpr
	;; [unrolled: 1-line block ×4, first 2 shown]
v_mfma_f32_32x32x8f16 a[0+0:15+0], v[vgprValuA_X0_I0+0+0+0:vgprValuA_X0_I0+0+0+0+1], v[vgprValuB_X0_I0+0+0+0:vgprValuB_X0_I0+0+0+0+1], a[0:15]
/*  mfmaIndex:1  */
_ds_load_u16 v[vgprValuA_X1_I0+0], v[vgprLocalReadAddrA] offset:1280 // L -> Reg lro=640 swapByteOffset=0 ti=32 vIdx=0 rIdx=0 oIdx=0 buffer=1 iui=0
_ds_load_u16_d16_hi v91, v[vgprLocalReadAddrA] offset:1600 // L -> Reg lro=640 swapByteOffset=0 ti=32 vIdx=0 rIdx=1 oIdx=0 buffer=1 iui=0
_ds_load_u16 v[vgprValuA_X1_I0+1], v[vgprLocalReadAddrA] offset:1920 // L -> Reg lro=640 swapByteOffset=0 ti=32 vIdx=0 rIdx=2 oIdx=0 buffer=1 iui=0
_ds_load_u16_d16_hi v92, v[vgprLocalReadAddrA] offset:2240 // L -> Reg lro=640 swapByteOffset=0 ti=32 vIdx=0 rIdx=3 oIdx=0 buffer=1 iui=0
_ds_load_b128 v[vgprValuB_X2_I0+0:vgprValuB_X2_I0+0+3], v[vgprLocalReadAddrB] offset:32 // L -> Reg lro=16 swapByteOffset=0 ti=128 vIdx=0 rIdx=0 oIdx=0 buffer=2 iui=0
_ds_load_u16 v[vgprValuA_X1_I0+2], v[vgprLocalReadAddrA] offset:1344 // L -> Reg lro=640 swapByteOffset=0 ti=32 vIdx=1 rIdx=0 oIdx=0 buffer=1 iui=0
/* pack scheduling: packAIdx:4, packBIdx:0 */
v_or_b32 v[vgprValuA_X0_I0+4], v[vgprValuA_X0_I0+4], v85 // pack two half Vgpr to one Vgpr
v_or_b32 v[vgprValuA_X0_I0+5], v[vgprValuA_X0_I0+5], v86 // pack two half Vgpr to one Vgpr
	;; [unrolled: 1-line block ×4, first 2 shown]
v_mfma_f32_32x32x8f16 a[16+0:31+0], v[vgprValuA_X0_I0+2+0+0:vgprValuA_X0_I0+2+0+0+1], v[vgprValuB_X0_I0+0+0+0:vgprValuB_X0_I0+0+0+0+1], a[16:31]
/*  mfmaIndex:2  */
_ds_load_u16_d16_hi v93, v[vgprLocalReadAddrA] offset:1664 // L -> Reg lro=640 swapByteOffset=0 ti=32 vIdx=1 rIdx=1 oIdx=0 buffer=1 iui=0
_ds_load_u16 v[vgprValuA_X1_I0+3], v[vgprLocalReadAddrA] offset:1984 // L -> Reg lro=640 swapByteOffset=0 ti=32 vIdx=1 rIdx=2 oIdx=0 buffer=1 iui=0
_ds_load_u16_d16_hi v94, v[vgprLocalReadAddrA] offset:2304 // L -> Reg lro=640 swapByteOffset=0 ti=32 vIdx=1 rIdx=3 oIdx=0 buffer=1 iui=0
_ds_load_u16 v[vgprValuA_X1_I0+4], v[vgprLocalReadAddrA] offset:1408 // L -> Reg lro=640 swapByteOffset=0 ti=32 vIdx=2 rIdx=0 oIdx=0 buffer=1 iui=0
	;; [unrolled: 2-line block ×3, first 2 shown]
/* pack scheduling: packAIdx:6, packBIdx:0 */
v_or_b32 v[vgprValuA_X0_I0+8], v[vgprValuA_X0_I0+8], v89 // pack two half Vgpr to one Vgpr
v_or_b32 v[vgprValuA_X0_I0+9], v[vgprValuA_X0_I0+9], v90 // pack two half Vgpr to one Vgpr
v_mfma_f32_32x32x8f16 a[32+0:47+0], v[vgprValuA_X0_I0+4+0+0:vgprValuA_X0_I0+4+0+0+1], v[vgprValuB_X0_I0+0+0+0:vgprValuB_X0_I0+0+0+0+1], a[32:47]
/*  mfmaIndex:3  */
_ds_load_u16_d16_hi v96, v[vgprLocalReadAddrA] offset:2368 // L -> Reg lro=640 swapByteOffset=0 ti=32 vIdx=2 rIdx=3 oIdx=0 buffer=1 iui=0
_ds_load_u16 v[vgprValuA_X1_I0+6], v[vgprLocalReadAddrA] offset:1472 // L -> Reg lro=640 swapByteOffset=0 ti=32 vIdx=3 rIdx=0 oIdx=0 buffer=1 iui=0
_ds_load_u16_d16_hi v97, v[vgprLocalReadAddrA] offset:1792 // L -> Reg lro=640 swapByteOffset=0 ti=32 vIdx=3 rIdx=1 oIdx=0 buffer=1 iui=0
_ds_load_u16 v[vgprValuA_X1_I0+7], v[vgprLocalReadAddrA] offset:2112 // L -> Reg lro=640 swapByteOffset=0 ti=32 vIdx=3 rIdx=2 oIdx=0 buffer=1 iui=0
	;; [unrolled: 2-line block ×3, first 2 shown]
v_mfma_f32_32x32x8f16 a[48+0:63+0], v[vgprValuA_X0_I0+6+0+0:vgprValuA_X0_I0+6+0+0+1], v[vgprValuB_X0_I0+0+0+0:vgprValuB_X0_I0+0+0+0+1], a[48:63]
/*  mfmaIndex:4  */
_ds_load_u16_d16_hi v99, v[vgprLocalReadAddrA] offset:1856 // L -> Reg lro=640 swapByteOffset=0 ti=32 vIdx=4 rIdx=1 oIdx=0 buffer=1 iui=0
_ds_load_u16 v[vgprValuA_X1_I0+9], v[vgprLocalReadAddrA] offset:2176 // L -> Reg lro=640 swapByteOffset=0 ti=32 vIdx=4 rIdx=2 oIdx=0 buffer=1 iui=0
_ds_load_u16_d16_hi v100, v[vgprLocalReadAddrA] offset:2496 // L -> Reg lro=640 swapByteOffset=0 ti=32 vIdx=4 rIdx=3 oIdx=0 buffer=1 iui=0
/* localReadsVacancy: latencyLeft 7 */
_ds_load_u16 v[vgprValuA_X2_I0+0], v[vgprLocalReadAddrA] offset:5120 // L -> Reg lro=2560 swapByteOffset=0 ti=32 vIdx=0 rIdx=0 oIdx=0 buffer=2 iui=0
_ds_load_u16 v[vgprValuA_X2_I0+1], v[vgprLocalReadAddrA] offset:5760 // L -> Reg lro=2560 swapByteOffset=0 ti=32 vIdx=0 rIdx=2 oIdx=0 buffer=2 iui=0
_ds_load_u16 v[vgprValuA_X2_I0+2], v[vgprLocalReadAddrA] offset:5184 // L -> Reg lro=2560 swapByteOffset=0 ti=32 vIdx=1 rIdx=0 oIdx=0 buffer=2 iui=0
v_mfma_f32_32x32x8f16 a[64+0:79+0], v[vgprValuA_X0_I0+8+0+0:vgprValuA_X0_I0+8+0+0+1], v[vgprValuB_X0_I0+0+0+0:vgprValuB_X0_I0+0+0+0+1], a[64:79]
/* numPrefetchIter=0 */
/* dataAtIterA=-1 numReadsIterA=1 skipReadsIterA=1 readsPerIterA=20 */
/* dataAtIterB=-1 numReadsIterB=1 skipReadsIterB=1 readsPerIterB=1 */


/* iter 1 (last unrolled loop) */

/*  grEndMfmaIndex:0, lwStartMfmaIndex:14, lwEndMfmaIndex:14  */
/*  numMfmaForLR:4, barrierMfmaIndex:15, LocalWritePerMfma:0.820 */
/*  mfmaIndex:5  */
_ds_load_u16_d16_hi v81, v[vgprLocalReadAddrA] offset:5440 // L -> Reg lro=2560 swapByteOffset=0 ti=32 vIdx=0 rIdx=1 oIdx=0 buffer=2 iui=0
_ds_load_u16_d16_hi v82, v[vgprLocalReadAddrA] offset:6080 // L -> Reg lro=2560 swapByteOffset=0 ti=32 vIdx=0 rIdx=3 oIdx=0 buffer=2 iui=0
	;; [unrolled: 1-line block ×3, first 2 shown]
_ds_load_u16 v[vgprValuA_X2_I0+3], v[vgprLocalReadAddrA] offset:5824 // L -> Reg lro=2560 swapByteOffset=0 ti=32 vIdx=1 rIdx=2 oIdx=0 buffer=2 iui=0
_ds_load_u16_d16_hi v84, v[vgprLocalReadAddrA] offset:6144 // L -> Reg lro=2560 swapByteOffset=0 ti=32 vIdx=1 rIdx=3 oIdx=0 buffer=2 iui=0
_ds_load_u16 v[vgprValuA_X2_I0+4], v[vgprLocalReadAddrA] offset:5248 // L -> Reg lro=2560 swapByteOffset=0 ti=32 vIdx=2 rIdx=0 oIdx=0 buffer=2 iui=0
s_waitcnt lgkmcnt(9)                               // lgkmcnt=0 vmcnt=-1wait for prior local read local write old=3, new=9 newLW=0 newLR=6
/* pack scheduling: packAIdx:2, packBIdx:0 */
v_or_b32 v[vgprValuA_X1_I0+0], v[vgprValuA_X1_I0+0], v91 // pack two half Vgpr to one Vgpr
v_or_b32 v[vgprValuA_X1_I0+1], v[vgprValuA_X1_I0+1], v92 // pack two half Vgpr to one Vgpr
	;; [unrolled: 1-line block ×4, first 2 shown]
v_mfma_f32_32x32x8f16 a[0+0:15+0], v[vgprValuA_X1_I0+0+0+0:vgprValuA_X1_I0+0+0+0+1], v[vgprValuB_X0_I0+0+2+0:vgprValuB_X0_I0+0+2+0+1], a[0:15]
/*  mfmaIndex:6  */
_ds_load_u16_d16_hi v85, v[vgprLocalReadAddrA] offset:5568 // L -> Reg lro=2560 swapByteOffset=0 ti=32 vIdx=2 rIdx=1 oIdx=0 buffer=2 iui=0
_ds_load_u16 v[vgprValuA_X2_I0+5], v[vgprLocalReadAddrA] offset:5888 // L -> Reg lro=2560 swapByteOffset=0 ti=32 vIdx=2 rIdx=2 oIdx=0 buffer=2 iui=0
_ds_load_u16_d16_hi v86, v[vgprLocalReadAddrA] offset:6208 // L -> Reg lro=2560 swapByteOffset=0 ti=32 vIdx=2 rIdx=3 oIdx=0 buffer=2 iui=0
_ds_load_u16 v[vgprValuA_X2_I0+6], v[vgprLocalReadAddrA] offset:5312 // L -> Reg lro=2560 swapByteOffset=0 ti=32 vIdx=3 rIdx=0 oIdx=0 buffer=2 iui=0
	;; [unrolled: 2-line block ×3, first 2 shown]
/* pack scheduling: packAIdx:4, packBIdx:0 */
v_or_b32 v[vgprValuA_X1_I0+4], v[vgprValuA_X1_I0+4], v95 // pack two half Vgpr to one Vgpr
v_or_b32 v[vgprValuA_X1_I0+5], v[vgprValuA_X1_I0+5], v96 // pack two half Vgpr to one Vgpr
	;; [unrolled: 1-line block ×4, first 2 shown]
v_mfma_f32_32x32x8f16 a[16+0:31+0], v[vgprValuA_X1_I0+2+0+0:vgprValuA_X1_I0+2+0+0+1], v[vgprValuB_X0_I0+0+2+0:vgprValuB_X0_I0+0+2+0+1], a[16:31]
/*  mfmaIndex:7  */
_ds_load_u16_d16_hi v88, v[vgprLocalReadAddrA] offset:6272 // L -> Reg lro=2560 swapByteOffset=0 ti=32 vIdx=3 rIdx=3 oIdx=0 buffer=2 iui=0
_ds_load_u16 v[vgprValuA_X2_I0+8], v[vgprLocalReadAddrA] offset:5376 // L -> Reg lro=2560 swapByteOffset=0 ti=32 vIdx=4 rIdx=0 oIdx=0 buffer=2 iui=0
_ds_load_u16_d16_hi v89, v[vgprLocalReadAddrA] offset:5696 // L -> Reg lro=2560 swapByteOffset=0 ti=32 vIdx=4 rIdx=1 oIdx=0 buffer=2 iui=0
_ds_load_u16 v[vgprValuA_X2_I0+9], v[vgprLocalReadAddrA] offset:6016 // L -> Reg lro=2560 swapByteOffset=0 ti=32 vIdx=4 rIdx=2 oIdx=0 buffer=2 iui=0
_ds_load_u16_d16_hi v90, v[vgprLocalReadAddrA] offset:6336 // L -> Reg lro=2560 swapByteOffset=0 ti=32 vIdx=4 rIdx=3 oIdx=0 buffer=2 iui=0
/* localReadsVacancy: latencyLeft 3 */
_ds_load_u16 v[vgprValuA_X3_I0+0], v[vgprLocalReadAddrA] offset:6400 // L -> Reg lro=3200 swapByteOffset=0 ti=32 vIdx=0 rIdx=0 oIdx=0 buffer=3 iui=0
/* pack scheduling: packAIdx:6, packBIdx:0 */
v_or_b32 v[vgprValuA_X1_I0+8], v[vgprValuA_X1_I0+8], v99 // pack two half Vgpr to one Vgpr
v_or_b32 v[vgprValuA_X1_I0+9], v[vgprValuA_X1_I0+9], v100 // pack two half Vgpr to one Vgpr
v_mfma_f32_32x32x8f16 a[32+0:47+0], v[vgprValuA_X1_I0+4+0+0:vgprValuA_X1_I0+4+0+0+1], v[vgprValuB_X0_I0+0+2+0:vgprValuB_X0_I0+0+2+0+1], a[32:47]
/*  mfmaIndex:8  */
/* localReadsVacancy: latencyLeft 13 */
_ds_load_u16 v[vgprValuA_X3_I0+1], v[vgprLocalReadAddrA] offset:7040 // L -> Reg lro=3200 swapByteOffset=0 ti=32 vIdx=0 rIdx=2 oIdx=0 buffer=3 iui=0
_ds_load_u16 v[vgprValuA_X3_I0+2], v[vgprLocalReadAddrA] offset:6464 // L -> Reg lro=3200 swapByteOffset=0 ti=32 vIdx=1 rIdx=0 oIdx=0 buffer=3 iui=0
	;; [unrolled: 1-line block ×6, first 2 shown]
v_mfma_f32_32x32x8f16 a[48+0:63+0], v[vgprValuA_X1_I0+6+0+0:vgprValuA_X1_I0+6+0+0+1], v[vgprValuB_X0_I0+0+2+0:vgprValuB_X0_I0+0+2+0+1], a[48:63]
/*  mfmaIndex:9  */
/* localReadsVacancy: latencyLeft 13 */
_ds_load_u16 v[vgprValuA_X3_I0+7], v[vgprLocalReadAddrA] offset:7232 // L -> Reg lro=3200 swapByteOffset=0 ti=32 vIdx=3 rIdx=2 oIdx=0 buffer=3 iui=0
_ds_load_u16 v[vgprValuA_X3_I0+8], v[vgprLocalReadAddrA] offset:6656 // L -> Reg lro=3200 swapByteOffset=0 ti=32 vIdx=4 rIdx=0 oIdx=0 buffer=3 iui=0
	;; [unrolled: 1-line block ×3, first 2 shown]
v_mfma_f32_32x32x8f16 a[64+0:79+0], v[vgprValuA_X1_I0+8+0+0:vgprValuA_X1_I0+8+0+0+1], v[vgprValuB_X0_I0+0+2+0:vgprValuB_X0_I0+0+2+0+1], a[64:79]
/* numPrefetchIter=0 */
/* dataAtIterA=0 numReadsIterA=2 skipReadsIterA=1 readsPerIterA=20 */
/* dataAtIterB=-1 numReadsIterB=1 skipReadsIterB=0 readsPerIterB=1 */


/* iter 2 (last unrolled loop) */

/*  grEndMfmaIndex:0, lwStartMfmaIndex:14, lwEndMfmaIndex:14  */
/*  numMfmaForLR:4, barrierMfmaIndex:15, LocalWritePerMfma:0.820 */
/*  mfmaIndex:10  */
_ds_load_u16_d16_hi v91, v[vgprLocalReadAddrA] offset:6720 // L -> Reg lro=3200 swapByteOffset=0 ti=32 vIdx=0 rIdx=1 oIdx=0 buffer=3 iui=0
_ds_load_u16_d16_hi v92, v[vgprLocalReadAddrA] offset:7360 // L -> Reg lro=3200 swapByteOffset=0 ti=32 vIdx=0 rIdx=3 oIdx=0 buffer=3 iui=0
	;; [unrolled: 1-line block ×6, first 2 shown]
s_waitcnt lgkmcnt(15)                              // lgkmcnt=0 vmcnt=-1wait for prior local read local write old=10, new=16 newLW=0 newLR=6
/* pack scheduling: packAIdx:2, packBIdx:0 */
v_or_b32 v[vgprValuA_X2_I0+0], v[vgprValuA_X2_I0+0], v81 // pack two half Vgpr to one Vgpr
v_or_b32 v[vgprValuA_X2_I0+1], v[vgprValuA_X2_I0+1], v82 // pack two half Vgpr to one Vgpr
	;; [unrolled: 1-line block ×4, first 2 shown]
v_mfma_f32_32x32x8f16 a[0+0:15+0], v[vgprValuA_X2_I0+0+0+0:vgprValuA_X2_I0+0+0+0+1], v[vgprValuB_X2_I0+0+0+0:vgprValuB_X2_I0+0+0+0+1], a[0:15]
/*  mfmaIndex:11  */
_ds_load_u16_d16_hi v97, v[vgprLocalReadAddrA] offset:6912 // L -> Reg lro=3200 swapByteOffset=0 ti=32 vIdx=3 rIdx=1 oIdx=0 buffer=3 iui=0
_ds_load_u16_d16_hi v98, v[vgprLocalReadAddrA] offset:7552 // L -> Reg lro=3200 swapByteOffset=0 ti=32 vIdx=3 rIdx=3 oIdx=0 buffer=3 iui=0
_ds_load_u16_d16_hi v99, v[vgprLocalReadAddrA] offset:6976 // L -> Reg lro=3200 swapByteOffset=0 ti=32 vIdx=4 rIdx=1 oIdx=0 buffer=3 iui=0
_ds_load_u16_d16_hi v100, v[vgprLocalReadAddrA] offset:7616 // L -> Reg lro=3200 swapByteOffset=0 ti=32 vIdx=4 rIdx=3 oIdx=0 buffer=3 iui=0
/* localReadsVacancy: latencyLeft 5 */
/* pack scheduling: packAIdx:4, packBIdx:0 */
v_or_b32 v[vgprValuA_X2_I0+4], v[vgprValuA_X2_I0+4], v85 // pack two half Vgpr to one Vgpr
v_or_b32 v[vgprValuA_X2_I0+5], v[vgprValuA_X2_I0+5], v86 // pack two half Vgpr to one Vgpr
v_or_b32 v[vgprValuA_X2_I0+6], v[vgprValuA_X2_I0+6], v87 // pack two half Vgpr to one Vgpr
v_or_b32 v[vgprValuA_X2_I0+7], v[vgprValuA_X2_I0+7], v88 // pack two half Vgpr to one Vgpr
v_mfma_f32_32x32x8f16 a[16+0:31+0], v[vgprValuA_X2_I0+2+0+0:vgprValuA_X2_I0+2+0+0+1], v[vgprValuB_X2_I0+0+0+0:vgprValuB_X2_I0+0+0+0+1], a[16:31]
/*  mfmaIndex:12  */
/* localReadsVacancy: latencyLeft 13 */
/* pack scheduling: packAIdx:6, packBIdx:0 */
v_or_b32 v[vgprValuA_X2_I0+8], v[vgprValuA_X2_I0+8], v89 // pack two half Vgpr to one Vgpr
v_or_b32 v[vgprValuA_X2_I0+9], v[vgprValuA_X2_I0+9], v90 // pack two half Vgpr to one Vgpr
v_mfma_f32_32x32x8f16 a[32+0:47+0], v[vgprValuA_X2_I0+4+0+0:vgprValuA_X2_I0+4+0+0+1], v[vgprValuB_X2_I0+0+0+0:vgprValuB_X2_I0+0+0+0+1], a[32:47]
/*  mfmaIndex:13  */
/* localReadsVacancy: latencyLeft 13 */
v_mfma_f32_32x32x8f16 a[48+0:63+0], v[vgprValuA_X2_I0+6+0+0:vgprValuA_X2_I0+6+0+0+1], v[vgprValuB_X2_I0+0+0+0:vgprValuB_X2_I0+0+0+0+1], a[48:63]
/*  mfmaIndex:14  */
/* localReadsVacancy: latencyLeft 13 */
v_mfma_f32_32x32x8f16 a[64+0:79+0], v[vgprValuA_X2_I0+8+0+0:vgprValuA_X2_I0+8+0+0+1], v[vgprValuB_X2_I0+0+0+0:vgprValuB_X2_I0+0+0+0+1], a[64:79]
/* numPrefetchIter=0 */
/* dataAtIterA=1 numReadsIterA=3 skipReadsIterA=1 readsPerIterA=20 */
/* dataAtIterB=0 numReadsIterB=1 skipReadsIterB=0 readsPerIterB=1 */


/* iter 3 (last unrolled loop) */

/*  grEndMfmaIndex:0, lwStartMfmaIndex:14, lwEndMfmaIndex:14  */
/*  numMfmaForLR:4, barrierMfmaIndex:15, LocalWritePerMfma:0.820 */
/*  mfmaIndex:15  */
s_waitcnt lgkmcnt(0)                               // lgkmcnt=0 vmcnt=-1wait for prior local read local write old=0, new=0 newLW=0 newLR=0
/* pack scheduling: packAIdx:2, packBIdx:0 */
v_or_b32 v[vgprValuA_X3_I0+0], v[vgprValuA_X3_I0+0], v91 // pack two half Vgpr to one Vgpr
v_or_b32 v[vgprValuA_X3_I0+1], v[vgprValuA_X3_I0+1], v92 // pack two half Vgpr to one Vgpr
	;; [unrolled: 1-line block ×4, first 2 shown]
v_mfma_f32_32x32x8f16 a[0+0:15+0], v[vgprValuA_X3_I0+0+0+0:vgprValuA_X3_I0+0+0+0+1], v[vgprValuB_X2_I0+0+2+0:vgprValuB_X2_I0+0+2+0+1], a[0:15]
/*  mfmaIndex:16  */
/* pack scheduling: packAIdx:4, packBIdx:0 */
v_or_b32 v[vgprValuA_X3_I0+4], v[vgprValuA_X3_I0+4], v95 // pack two half Vgpr to one Vgpr
v_or_b32 v[vgprValuA_X3_I0+5], v[vgprValuA_X3_I0+5], v96 // pack two half Vgpr to one Vgpr
	;; [unrolled: 1-line block ×4, first 2 shown]
v_mfma_f32_32x32x8f16 a[16+0:31+0], v[vgprValuA_X3_I0+2+0+0:vgprValuA_X3_I0+2+0+0+1], v[vgprValuB_X2_I0+0+2+0:vgprValuB_X2_I0+0+2+0+1], a[16:31]
/*  mfmaIndex:17  */
/* pack scheduling: packAIdx:6, packBIdx:0 */
v_or_b32 v[vgprValuA_X3_I0+8], v[vgprValuA_X3_I0+8], v99 // pack two half Vgpr to one Vgpr
v_or_b32 v[vgprValuA_X3_I0+9], v[vgprValuA_X3_I0+9], v100 // pack two half Vgpr to one Vgpr
v_mfma_f32_32x32x8f16 a[32+0:47+0], v[vgprValuA_X3_I0+4+0+0:vgprValuA_X3_I0+4+0+0+1], v[vgprValuB_X2_I0+0+2+0:vgprValuB_X2_I0+0+2+0+1], a[32:47]
/*  mfmaIndex:18  */
v_mfma_f32_32x32x8f16 a[48+0:63+0], v[vgprValuA_X3_I0+6+0+0:vgprValuA_X3_I0+6+0+0+1], v[vgprValuB_X2_I0+0+2+0:vgprValuB_X2_I0+0+2+0+1], a[48:63]
/*  mfmaIndex:19  */
v_mfma_f32_32x32x8f16 a[64+0:79+0], v[vgprValuA_X3_I0+8+0+0:vgprValuA_X3_I0+8+0+0+1], v[vgprValuB_X2_I0+0+2+0:vgprValuB_X2_I0+0+2+0+1], a[64:79]
/* numPrefetchIter=0 */
/* dataAtIterA=2 numReadsIterA=3 skipReadsIterA=0 readsPerIterA=20 */
/* dataAtIterB=0 numReadsIterB=1 skipReadsIterB=0 readsPerIterB=1 */

/* Stores for OptNLL */
Summation_End_OptNLL_17:
/* endSummation: add vgpr [0...78) to pool */

/* Mapping of Acc register -> C Vgpr register */
/* computeStoreVgprs */
v_lshrrev_b32 v4, 6, v[vgprSerial]                 // v4 = v[vgprSerial] / 64
v_lshrrev_b32 v1, 0, v4                            // v1 = v4 / 1
v_mul_lo_u32 v1, 0x20, v1                          // wave coordination offset 1
v_and_b32 v5, 31, v[vgprSerial]                    // v5 = v[vgprSerial] % 32
_v_add_lshl_u32 v1, v5, v1, 0                      // coordination 1 = vwb *(wave_id1 + tid1)
v_mul_lo_u32 v2, v1, s[sgprStrideC1J]              //  offset 1
v_mul_lo_u32 v3, v1, s[sgprStrideD1J]              //  offset 1
v_and_b32 v0, 63, v[vgprSerial]                    // v0 = v[vgprSerial] % 64
v_lshrrev_b32 v0, 5, v0                            // v0 = v0 / 32
v_lshlrev_b32 v0, 0x2, v0                          // thread0 * continuous_output
v_and_b32 v5, 0, v4                                // v5 = v4 % 1
v_mul_lo_u32 v5, 0x20, v5                          // wave coordination offset 0
_v_add_lshl_u32 v0, v5, v0, 0                      // coordination 0 = vwa *(wave_id0 + tid0)
s_mul_i32 s31, 160, s[sgprWorkGroup0]              // wgp0 * MT0
_v_add_u32 v0, s31, v0                             // coord 0 = (tid0/MI_m)*4 + waveG0*MIB_m + MT0*SG0
s_mul_i32 s31, 128, s[sgprWorkGroup1]              // wgp1 * MT1
_v_add_u32 v1, s31, v1                             // coord 1 = (tid0%MI_m) + waveG1*MIB_n + MT1*SG1
GW_B0_E0_20:

/* edge=0, allocate 2 sgpr. perBatchTmpS=2 perBatchMaskS=0 perElementMaskS=0 elementsPerBatch=60 */
/* optSingleColVgpr=1 optSharedColVgpr=0 optSGPRUsage=BufferLoad_Mask optSrdIncForRow=1 */

/******************************************/
/* Global Write Batch #0 (d1,d0,vc1,vc0) = */
/*    (0,0,0,0:vw4); (0,1,0,0:vw4); (0,2,0,0:vw4); (0,3,0,0:vw4); (0,4,0,0:vw4); (0,5,0,0:vw4); (0,6,0,0:vw4); (0,7,0,0:vw4); (0,8,0,0:vw4); (0,9,0,0:vw4); (0,10,0,0:vw4); (0,11,0,0:vw4); (0,12,0,0:vw4); (0,13,0,0:vw4); (0,14,0,0:vw4); (0,15,0,0:vw4); (0,16,0,0:vw4); (0,17,0,0:vw4); (0,18,0,0:vw4); (0,19,0,0:vw4) */
/******************************************/

/* calc coords, apply mask, and issue loads (if necessary) */
/* (d1,vc1,d0,vc0)=(0,0,0,0) */
/* (d1,vc1,d0,vc0)=(0,0,1,0) */
	;; [unrolled: 1-line block ×20, first 2 shown]
_v_add_lshl_u32 v6, v3, v0, 0x1                    // optSingleColVgpr scaleToBpe: sharedAddrVgpr <- cinRowPtr + coord0, scaled by BPE. BSHERE:coord0=0, coord0Vgpr=0
v_accvgpr_read_b32 v[vgprValuC+8], acc0 // copy acc to vreg[0]
v_accvgpr_read_b32 v[vgprValuC+9], acc1 // copy acc to vreg[1]
v_accvgpr_read_b32 v[vgprValuC+10], acc2 // copy acc to vreg[2]
v_accvgpr_read_b32 v[vgprValuC+11], acc3 // copy acc to vreg[3]
v_accvgpr_read_b32 v[vgprValuC+12], acc4 // copy acc to vreg[4]
v_accvgpr_read_b32 v[vgprValuC+13], acc5 // copy acc to vreg[5]
v_accvgpr_read_b32 v[vgprValuC+14], acc6 // copy acc to vreg[6]
v_accvgpr_read_b32 v[vgprValuC+15], acc7 // copy acc to vreg[7]
v_accvgpr_read_b32 v[vgprValuC+16], acc8 // copy acc to vreg[8]
v_accvgpr_read_b32 v[vgprValuC+17], acc9 // copy acc to vreg[9]
v_accvgpr_read_b32 v[vgprValuC+18], acc10 // copy acc to vreg[10]
v_accvgpr_read_b32 v[vgprValuC+19], acc11 // copy acc to vreg[11]
v_accvgpr_read_b32 v[vgprValuC+20], acc12 // copy acc to vreg[12]
v_accvgpr_read_b32 v[vgprValuC+21], acc13 // copy acc to vreg[13]
v_accvgpr_read_b32 v[vgprValuC+22], acc14 // copy acc to vreg[14]
v_accvgpr_read_b32 v[vgprValuC+23], acc15 // copy acc to vreg[15]
v_accvgpr_read_b32 v[vgprValuC+24], acc16 // copy acc to vreg[16]
v_accvgpr_read_b32 v[vgprValuC+25], acc17 // copy acc to vreg[17]
v_accvgpr_read_b32 v[vgprValuC+26], acc18 // copy acc to vreg[18]
v_accvgpr_read_b32 v[vgprValuC+27], acc19 // copy acc to vreg[19]
v_accvgpr_read_b32 v[vgprValuC+28], acc20 // copy acc to vreg[20]
v_accvgpr_read_b32 v[vgprValuC+29], acc21 // copy acc to vreg[21]
v_accvgpr_read_b32 v[vgprValuC+30], acc22 // copy acc to vreg[22]
v_accvgpr_read_b32 v[vgprValuC+31], acc23 // copy acc to vreg[23]
v_accvgpr_read_b32 v[vgprValuC+32], acc24 // copy acc to vreg[24]
v_accvgpr_read_b32 v[vgprValuC+33], acc25 // copy acc to vreg[25]
v_accvgpr_read_b32 v[vgprValuC+34], acc26 // copy acc to vreg[26]
v_accvgpr_read_b32 v[vgprValuC+35], acc27 // copy acc to vreg[27]
v_accvgpr_read_b32 v[vgprValuC+36], acc28 // copy acc to vreg[28]
v_accvgpr_read_b32 v[vgprValuC+37], acc29 // copy acc to vreg[29]
v_accvgpr_read_b32 v[vgprValuC+38], acc30 // copy acc to vreg[30]
v_accvgpr_read_b32 v[vgprValuC+39], acc31 // copy acc to vreg[31]
v_accvgpr_read_b32 v[vgprValuC+40], acc32 // copy acc to vreg[32]
v_accvgpr_read_b32 v[vgprValuC+41], acc33 // copy acc to vreg[33]
v_accvgpr_read_b32 v[vgprValuC+42], acc34 // copy acc to vreg[34]
v_accvgpr_read_b32 v[vgprValuC+43], acc35 // copy acc to vreg[35]
v_accvgpr_read_b32 v[vgprValuC+44], acc36 // copy acc to vreg[36]
v_accvgpr_read_b32 v[vgprValuC+45], acc37 // copy acc to vreg[37]
v_accvgpr_read_b32 v[vgprValuC+46], acc38 // copy acc to vreg[38]
v_accvgpr_read_b32 v[vgprValuC+47], acc39 // copy acc to vreg[39]
v_accvgpr_read_b32 v[vgprValuC+48], acc40 // copy acc to vreg[40]
v_accvgpr_read_b32 v[vgprValuC+49], acc41 // copy acc to vreg[41]
v_accvgpr_read_b32 v[vgprValuC+50], acc42 // copy acc to vreg[42]
v_accvgpr_read_b32 v[vgprValuC+51], acc43 // copy acc to vreg[43]
v_accvgpr_read_b32 v[vgprValuC+52], acc44 // copy acc to vreg[44]
v_accvgpr_read_b32 v[vgprValuC+53], acc45 // copy acc to vreg[45]
v_accvgpr_read_b32 v[vgprValuC+54], acc46 // copy acc to vreg[46]
v_accvgpr_read_b32 v[vgprValuC+55], acc47 // copy acc to vreg[47]
v_accvgpr_read_b32 v[vgprValuC+56], acc48 // copy acc to vreg[48]
v_accvgpr_read_b32 v[vgprValuC+57], acc49 // copy acc to vreg[49]
v_accvgpr_read_b32 v[vgprValuC+58], acc50 // copy acc to vreg[50]
v_accvgpr_read_b32 v[vgprValuC+59], acc51 // copy acc to vreg[51]
v_accvgpr_read_b32 v[vgprValuC+60], acc52 // copy acc to vreg[52]
v_accvgpr_read_b32 v[vgprValuC+61], acc53 // copy acc to vreg[53]
v_accvgpr_read_b32 v[vgprValuC+62], acc54 // copy acc to vreg[54]
v_accvgpr_read_b32 v[vgprValuC+63], acc55 // copy acc to vreg[55]
v_accvgpr_read_b32 v[vgprValuC+64], acc56 // copy acc to vreg[56]
v_accvgpr_read_b32 v[vgprValuC+65], acc57 // copy acc to vreg[57]
v_accvgpr_read_b32 v[vgprValuC+66], acc58 // copy acc to vreg[58]
v_accvgpr_read_b32 v[vgprValuC+67], acc59 // copy acc to vreg[59]
v_accvgpr_read_b32 v[vgprValuC+68], acc60 // copy acc to vreg[60]
v_accvgpr_read_b32 v[vgprValuC+69], acc61 // copy acc to vreg[61]
v_accvgpr_read_b32 v[vgprValuC+70], acc62 // copy acc to vreg[62]
v_accvgpr_read_b32 v[vgprValuC+71], acc63 // copy acc to vreg[63]
v_accvgpr_read_b32 v[vgprValuC+72], acc64 // copy acc to vreg[64]
v_accvgpr_read_b32 v[vgprValuC+73], acc65 // copy acc to vreg[65]
v_accvgpr_read_b32 v[vgprValuC+74], acc66 // copy acc to vreg[66]
v_accvgpr_read_b32 v[vgprValuC+75], acc67 // copy acc to vreg[67]
v_accvgpr_read_b32 v[vgprValuC+84], acc68 // copy acc to vreg[68]
v_accvgpr_read_b32 v[vgprValuC+85], acc69 // copy acc to vreg[69]
v_accvgpr_read_b32 v[vgprValuC+86], acc70 // copy acc to vreg[70]
v_accvgpr_read_b32 v[vgprValuC+87], acc71 // copy acc to vreg[71]
v_accvgpr_read_b32 v[vgprValuC+88], acc72 // copy acc to vreg[72]
v_accvgpr_read_b32 v[vgprValuC+89], acc73 // copy acc to vreg[73]
v_accvgpr_read_b32 v[vgprValuC+90], acc74 // copy acc to vreg[74]
v_accvgpr_read_b32 v[vgprValuC+91], acc75 // copy acc to vreg[75]
v_accvgpr_read_b32 v[vgprValuC+92], acc76 // copy acc to vreg[76]
v_accvgpr_read_b32 v[vgprValuC+93], acc77 // copy acc to vreg[77]
v_accvgpr_read_b32 v[vgprValuC+94], acc78 // copy acc to vreg[78]
v_accvgpr_read_b32 v[vgprValuC+95], acc79 // copy acc to vreg[79]
s_nop 1                                            // 2 wait states required before reading vgpr

/* apply mask, calc new C and issue writes */
v_cvt_f16_f32 v[vgprValuC+8], v[vgprValuC+8]       // convert C to fp16
v_cvt_f16_f32 v[vgprValuC+9], v[vgprValuC+9]       // convert C to fp16
v_pack_b32_f16 v8, v[vgprValuC+8], v[vgprValuC+9]  // Pack with neighbor
v_cvt_f16_f32 v[vgprValuC+10], v[vgprValuC+10]     // convert C to fp16
v_cvt_f16_f32 v[vgprValuC+11], v[vgprValuC+11]     // convert C to fp16
v_pack_b32_f16 v9, v[vgprValuC+10], v[vgprValuC+11] // Pack with neighbor
_buffer_store_b64 v[8:9], v6, s[sgprSrdD:sgprSrdD+3], 0, offen, offset:0 // store D
v_cvt_f16_f32 v[vgprValuC+12], v[vgprValuC+12]     // convert C to fp16
v_cvt_f16_f32 v[vgprValuC+13], v[vgprValuC+13]     // convert C to fp16
v_pack_b32_f16 v12, v[vgprValuC+12], v[vgprValuC+13] // Pack with neighbor
v_cvt_f16_f32 v[vgprValuC+14], v[vgprValuC+14]     // convert C to fp16
v_cvt_f16_f32 v[vgprValuC+15], v[vgprValuC+15]     // convert C to fp16
v_pack_b32_f16 v13, v[vgprValuC+14], v[vgprValuC+15] // Pack with neighbor
_buffer_store_b64 v[12:13], v6, s[sgprSrdD:sgprSrdD+3], 0, offen, offset:16 // store D
v_cvt_f16_f32 v[vgprValuC+16], v[vgprValuC+16]     // convert C to fp16
v_cvt_f16_f32 v[vgprValuC+17], v[vgprValuC+17]     // convert C to fp16
v_pack_b32_f16 v16, v[vgprValuC+16], v[vgprValuC+17] // Pack with neighbor
	;; [unrolled: 7-line block ×19, first 2 shown]
v_cvt_f16_f32 v[vgprValuC+94], v[vgprValuC+94]     // convert C to fp16
v_cvt_f16_f32 v[vgprValuC+95], v[vgprValuC+95]     // convert C to fp16
v_pack_b32_f16 v93, v[vgprValuC+94], v[vgprValuC+95] // Pack with neighbor
_buffer_store_b64 v[92:93], v6, s[sgprSrdD:sgprSrdD+3], 0, offen, offset:304 // store D
s_nop 0                                            // 1 wait state required when next inst writes vgprs held by previous dwordx4 store inst
s_branch label_GW_End_22                           // jump to end
label_GW_End_22:

s_endpgm                                           // Kernel End
OptNLL_End_16:


/******************************************/
/* Ord. NoLoadLoop - Begin                                      */
/******************************************/


	;; [unrolled: 1-line block ×4, first 2 shown]
/* iter 0 (last unrolled loop) */

/*  grEndMfmaIndex:0, lwStartMfmaIndex:14, lwEndMfmaIndex:14  */
/*  numMfmaForLR:4, barrierMfmaIndex:15, LocalWritePerMfma:0.820 */
/*  mfmaIndex:0  */
s_waitcnt lgkmcnt(0)                               // lgkmcnt=0 vmcnt=-1wait for prior local read local write old=0, new=0 newLW=0 newLR=0
/* pack scheduling: packAIdx:2, packBIdx:0 */
v_or_b32 v[vgprValuA_X0_I0+0], v[vgprValuA_X0_I0+0], v81 // pack two half Vgpr to one Vgpr
v_or_b32 v[vgprValuA_X0_I0+1], v[vgprValuA_X0_I0+1], v82 // pack two half Vgpr to one Vgpr
	;; [unrolled: 1-line block ×4, first 2 shown]
v_mfma_f32_32x32x8f16 a[0+0:15+0], v[vgprValuA_X0_I0+0+0+0:vgprValuA_X0_I0+0+0+0+1], v[vgprValuB_X0_I0+0+0+0:vgprValuB_X0_I0+0+0+0+1], a[0:15]
/*  mfmaIndex:1  */
_ds_load_u16 v[vgprValuA_X1_I0+0], v[vgprLocalReadAddrA] offset:1280 // L -> Reg lro=640 swapByteOffset=0 ti=32 vIdx=0 rIdx=0 oIdx=0 buffer=1 iui=0
_ds_load_u16_d16_hi v91, v[vgprLocalReadAddrA] offset:1600 // L -> Reg lro=640 swapByteOffset=0 ti=32 vIdx=0 rIdx=1 oIdx=0 buffer=1 iui=0
_ds_load_u16 v[vgprValuA_X1_I0+1], v[vgprLocalReadAddrA] offset:1920 // L -> Reg lro=640 swapByteOffset=0 ti=32 vIdx=0 rIdx=2 oIdx=0 buffer=1 iui=0
_ds_load_u16_d16_hi v92, v[vgprLocalReadAddrA] offset:2240 // L -> Reg lro=640 swapByteOffset=0 ti=32 vIdx=0 rIdx=3 oIdx=0 buffer=1 iui=0
_ds_load_b128 v[vgprValuB_X2_I0+0:vgprValuB_X2_I0+0+3], v[vgprLocalReadAddrB] offset:32 // L -> Reg lro=16 swapByteOffset=0 ti=128 vIdx=0 rIdx=0 oIdx=0 buffer=2 iui=0
_ds_load_u16 v[vgprValuA_X1_I0+2], v[vgprLocalReadAddrA] offset:1344 // L -> Reg lro=640 swapByteOffset=0 ti=32 vIdx=1 rIdx=0 oIdx=0 buffer=1 iui=0
/* pack scheduling: packAIdx:4, packBIdx:0 */
v_or_b32 v[vgprValuA_X0_I0+4], v[vgprValuA_X0_I0+4], v85 // pack two half Vgpr to one Vgpr
v_or_b32 v[vgprValuA_X0_I0+5], v[vgprValuA_X0_I0+5], v86 // pack two half Vgpr to one Vgpr
	;; [unrolled: 1-line block ×4, first 2 shown]
v_mfma_f32_32x32x8f16 a[16+0:31+0], v[vgprValuA_X0_I0+2+0+0:vgprValuA_X0_I0+2+0+0+1], v[vgprValuB_X0_I0+0+0+0:vgprValuB_X0_I0+0+0+0+1], a[16:31]
/*  mfmaIndex:2  */
_ds_load_u16_d16_hi v93, v[vgprLocalReadAddrA] offset:1664 // L -> Reg lro=640 swapByteOffset=0 ti=32 vIdx=1 rIdx=1 oIdx=0 buffer=1 iui=0
_ds_load_u16 v[vgprValuA_X1_I0+3], v[vgprLocalReadAddrA] offset:1984 // L -> Reg lro=640 swapByteOffset=0 ti=32 vIdx=1 rIdx=2 oIdx=0 buffer=1 iui=0
_ds_load_u16_d16_hi v94, v[vgprLocalReadAddrA] offset:2304 // L -> Reg lro=640 swapByteOffset=0 ti=32 vIdx=1 rIdx=3 oIdx=0 buffer=1 iui=0
_ds_load_u16 v[vgprValuA_X1_I0+4], v[vgprLocalReadAddrA] offset:1408 // L -> Reg lro=640 swapByteOffset=0 ti=32 vIdx=2 rIdx=0 oIdx=0 buffer=1 iui=0
	;; [unrolled: 2-line block ×3, first 2 shown]
/* pack scheduling: packAIdx:6, packBIdx:0 */
v_or_b32 v[vgprValuA_X0_I0+8], v[vgprValuA_X0_I0+8], v89 // pack two half Vgpr to one Vgpr
v_or_b32 v[vgprValuA_X0_I0+9], v[vgprValuA_X0_I0+9], v90 // pack two half Vgpr to one Vgpr
v_mfma_f32_32x32x8f16 a[32+0:47+0], v[vgprValuA_X0_I0+4+0+0:vgprValuA_X0_I0+4+0+0+1], v[vgprValuB_X0_I0+0+0+0:vgprValuB_X0_I0+0+0+0+1], a[32:47]
/*  mfmaIndex:3  */
_ds_load_u16_d16_hi v96, v[vgprLocalReadAddrA] offset:2368 // L -> Reg lro=640 swapByteOffset=0 ti=32 vIdx=2 rIdx=3 oIdx=0 buffer=1 iui=0
_ds_load_u16 v[vgprValuA_X1_I0+6], v[vgprLocalReadAddrA] offset:1472 // L -> Reg lro=640 swapByteOffset=0 ti=32 vIdx=3 rIdx=0 oIdx=0 buffer=1 iui=0
_ds_load_u16_d16_hi v97, v[vgprLocalReadAddrA] offset:1792 // L -> Reg lro=640 swapByteOffset=0 ti=32 vIdx=3 rIdx=1 oIdx=0 buffer=1 iui=0
_ds_load_u16 v[vgprValuA_X1_I0+7], v[vgprLocalReadAddrA] offset:2112 // L -> Reg lro=640 swapByteOffset=0 ti=32 vIdx=3 rIdx=2 oIdx=0 buffer=1 iui=0
	;; [unrolled: 2-line block ×3, first 2 shown]
v_mfma_f32_32x32x8f16 a[48+0:63+0], v[vgprValuA_X0_I0+6+0+0:vgprValuA_X0_I0+6+0+0+1], v[vgprValuB_X0_I0+0+0+0:vgprValuB_X0_I0+0+0+0+1], a[48:63]
/*  mfmaIndex:4  */
_ds_load_u16_d16_hi v99, v[vgprLocalReadAddrA] offset:1856 // L -> Reg lro=640 swapByteOffset=0 ti=32 vIdx=4 rIdx=1 oIdx=0 buffer=1 iui=0
_ds_load_u16 v[vgprValuA_X1_I0+9], v[vgprLocalReadAddrA] offset:2176 // L -> Reg lro=640 swapByteOffset=0 ti=32 vIdx=4 rIdx=2 oIdx=0 buffer=1 iui=0
_ds_load_u16_d16_hi v100, v[vgprLocalReadAddrA] offset:2496 // L -> Reg lro=640 swapByteOffset=0 ti=32 vIdx=4 rIdx=3 oIdx=0 buffer=1 iui=0
/* localReadsVacancy: latencyLeft 7 */
_ds_load_u16 v[vgprValuA_X2_I0+0], v[vgprLocalReadAddrA] offset:5120 // L -> Reg lro=2560 swapByteOffset=0 ti=32 vIdx=0 rIdx=0 oIdx=0 buffer=2 iui=0
_ds_load_u16 v[vgprValuA_X2_I0+1], v[vgprLocalReadAddrA] offset:5760 // L -> Reg lro=2560 swapByteOffset=0 ti=32 vIdx=0 rIdx=2 oIdx=0 buffer=2 iui=0
	;; [unrolled: 1-line block ×3, first 2 shown]
v_mfma_f32_32x32x8f16 a[64+0:79+0], v[vgprValuA_X0_I0+8+0+0:vgprValuA_X0_I0+8+0+0+1], v[vgprValuB_X0_I0+0+0+0:vgprValuB_X0_I0+0+0+0+1], a[64:79]
/* numPrefetchIter=0 */
/* dataAtIterA=-1 numReadsIterA=1 skipReadsIterA=1 readsPerIterA=20 */
/* dataAtIterB=-1 numReadsIterB=1 skipReadsIterB=1 readsPerIterB=1 */


/* iter 1 (last unrolled loop) */

/*  grEndMfmaIndex:0, lwStartMfmaIndex:14, lwEndMfmaIndex:14  */
/*  numMfmaForLR:4, barrierMfmaIndex:15, LocalWritePerMfma:0.820 */
/*  mfmaIndex:5  */
_ds_load_u16_d16_hi v81, v[vgprLocalReadAddrA] offset:5440 // L -> Reg lro=2560 swapByteOffset=0 ti=32 vIdx=0 rIdx=1 oIdx=0 buffer=2 iui=0
_ds_load_u16_d16_hi v82, v[vgprLocalReadAddrA] offset:6080 // L -> Reg lro=2560 swapByteOffset=0 ti=32 vIdx=0 rIdx=3 oIdx=0 buffer=2 iui=0
	;; [unrolled: 1-line block ×3, first 2 shown]
_ds_load_u16 v[vgprValuA_X2_I0+3], v[vgprLocalReadAddrA] offset:5824 // L -> Reg lro=2560 swapByteOffset=0 ti=32 vIdx=1 rIdx=2 oIdx=0 buffer=2 iui=0
_ds_load_u16_d16_hi v84, v[vgprLocalReadAddrA] offset:6144 // L -> Reg lro=2560 swapByteOffset=0 ti=32 vIdx=1 rIdx=3 oIdx=0 buffer=2 iui=0
_ds_load_u16 v[vgprValuA_X2_I0+4], v[vgprLocalReadAddrA] offset:5248 // L -> Reg lro=2560 swapByteOffset=0 ti=32 vIdx=2 rIdx=0 oIdx=0 buffer=2 iui=0
s_waitcnt lgkmcnt(9)                               // lgkmcnt=0 vmcnt=-1wait for prior local read local write old=3, new=9 newLW=0 newLR=6
/* pack scheduling: packAIdx:2, packBIdx:0 */
v_or_b32 v[vgprValuA_X1_I0+0], v[vgprValuA_X1_I0+0], v91 // pack two half Vgpr to one Vgpr
v_or_b32 v[vgprValuA_X1_I0+1], v[vgprValuA_X1_I0+1], v92 // pack two half Vgpr to one Vgpr
	;; [unrolled: 1-line block ×4, first 2 shown]
v_mfma_f32_32x32x8f16 a[0+0:15+0], v[vgprValuA_X1_I0+0+0+0:vgprValuA_X1_I0+0+0+0+1], v[vgprValuB_X0_I0+0+2+0:vgprValuB_X0_I0+0+2+0+1], a[0:15]
/*  mfmaIndex:6  */
_ds_load_u16_d16_hi v85, v[vgprLocalReadAddrA] offset:5568 // L -> Reg lro=2560 swapByteOffset=0 ti=32 vIdx=2 rIdx=1 oIdx=0 buffer=2 iui=0
_ds_load_u16 v[vgprValuA_X2_I0+5], v[vgprLocalReadAddrA] offset:5888 // L -> Reg lro=2560 swapByteOffset=0 ti=32 vIdx=2 rIdx=2 oIdx=0 buffer=2 iui=0
_ds_load_u16_d16_hi v86, v[vgprLocalReadAddrA] offset:6208 // L -> Reg lro=2560 swapByteOffset=0 ti=32 vIdx=2 rIdx=3 oIdx=0 buffer=2 iui=0
_ds_load_u16 v[vgprValuA_X2_I0+6], v[vgprLocalReadAddrA] offset:5312 // L -> Reg lro=2560 swapByteOffset=0 ti=32 vIdx=3 rIdx=0 oIdx=0 buffer=2 iui=0
	;; [unrolled: 2-line block ×3, first 2 shown]
/* pack scheduling: packAIdx:4, packBIdx:0 */
v_or_b32 v[vgprValuA_X1_I0+4], v[vgprValuA_X1_I0+4], v95 // pack two half Vgpr to one Vgpr
v_or_b32 v[vgprValuA_X1_I0+5], v[vgprValuA_X1_I0+5], v96 // pack two half Vgpr to one Vgpr
	;; [unrolled: 1-line block ×4, first 2 shown]
v_mfma_f32_32x32x8f16 a[16+0:31+0], v[vgprValuA_X1_I0+2+0+0:vgprValuA_X1_I0+2+0+0+1], v[vgprValuB_X0_I0+0+2+0:vgprValuB_X0_I0+0+2+0+1], a[16:31]
/*  mfmaIndex:7  */
_ds_load_u16_d16_hi v88, v[vgprLocalReadAddrA] offset:6272 // L -> Reg lro=2560 swapByteOffset=0 ti=32 vIdx=3 rIdx=3 oIdx=0 buffer=2 iui=0
_ds_load_u16 v[vgprValuA_X2_I0+8], v[vgprLocalReadAddrA] offset:5376 // L -> Reg lro=2560 swapByteOffset=0 ti=32 vIdx=4 rIdx=0 oIdx=0 buffer=2 iui=0
_ds_load_u16_d16_hi v89, v[vgprLocalReadAddrA] offset:5696 // L -> Reg lro=2560 swapByteOffset=0 ti=32 vIdx=4 rIdx=1 oIdx=0 buffer=2 iui=0
_ds_load_u16 v[vgprValuA_X2_I0+9], v[vgprLocalReadAddrA] offset:6016 // L -> Reg lro=2560 swapByteOffset=0 ti=32 vIdx=4 rIdx=2 oIdx=0 buffer=2 iui=0
_ds_load_u16_d16_hi v90, v[vgprLocalReadAddrA] offset:6336 // L -> Reg lro=2560 swapByteOffset=0 ti=32 vIdx=4 rIdx=3 oIdx=0 buffer=2 iui=0
/* localReadsVacancy: latencyLeft 3 */
_ds_load_u16 v[vgprValuA_X3_I0+0], v[vgprLocalReadAddrA] offset:6400 // L -> Reg lro=3200 swapByteOffset=0 ti=32 vIdx=0 rIdx=0 oIdx=0 buffer=3 iui=0
/* pack scheduling: packAIdx:6, packBIdx:0 */
v_or_b32 v[vgprValuA_X1_I0+8], v[vgprValuA_X1_I0+8], v99 // pack two half Vgpr to one Vgpr
v_or_b32 v[vgprValuA_X1_I0+9], v[vgprValuA_X1_I0+9], v100 // pack two half Vgpr to one Vgpr
v_mfma_f32_32x32x8f16 a[32+0:47+0], v[vgprValuA_X1_I0+4+0+0:vgprValuA_X1_I0+4+0+0+1], v[vgprValuB_X0_I0+0+2+0:vgprValuB_X0_I0+0+2+0+1], a[32:47]
/*  mfmaIndex:8  */
/* localReadsVacancy: latencyLeft 13 */
_ds_load_u16 v[vgprValuA_X3_I0+1], v[vgprLocalReadAddrA] offset:7040 // L -> Reg lro=3200 swapByteOffset=0 ti=32 vIdx=0 rIdx=2 oIdx=0 buffer=3 iui=0
_ds_load_u16 v[vgprValuA_X3_I0+2], v[vgprLocalReadAddrA] offset:6464 // L -> Reg lro=3200 swapByteOffset=0 ti=32 vIdx=1 rIdx=0 oIdx=0 buffer=3 iui=0
	;; [unrolled: 1-line block ×6, first 2 shown]
v_mfma_f32_32x32x8f16 a[48+0:63+0], v[vgprValuA_X1_I0+6+0+0:vgprValuA_X1_I0+6+0+0+1], v[vgprValuB_X0_I0+0+2+0:vgprValuB_X0_I0+0+2+0+1], a[48:63]
/*  mfmaIndex:9  */
/* localReadsVacancy: latencyLeft 13 */
_ds_load_u16 v[vgprValuA_X3_I0+7], v[vgprLocalReadAddrA] offset:7232 // L -> Reg lro=3200 swapByteOffset=0 ti=32 vIdx=3 rIdx=2 oIdx=0 buffer=3 iui=0
_ds_load_u16 v[vgprValuA_X3_I0+8], v[vgprLocalReadAddrA] offset:6656 // L -> Reg lro=3200 swapByteOffset=0 ti=32 vIdx=4 rIdx=0 oIdx=0 buffer=3 iui=0
	;; [unrolled: 1-line block ×3, first 2 shown]
v_mfma_f32_32x32x8f16 a[64+0:79+0], v[vgprValuA_X1_I0+8+0+0:vgprValuA_X1_I0+8+0+0+1], v[vgprValuB_X0_I0+0+2+0:vgprValuB_X0_I0+0+2+0+1], a[64:79]
/* numPrefetchIter=0 */
/* dataAtIterA=0 numReadsIterA=2 skipReadsIterA=1 readsPerIterA=20 */
/* dataAtIterB=-1 numReadsIterB=1 skipReadsIterB=0 readsPerIterB=1 */


/* iter 2 (last unrolled loop) */

/*  grEndMfmaIndex:0, lwStartMfmaIndex:14, lwEndMfmaIndex:14  */
/*  numMfmaForLR:4, barrierMfmaIndex:15, LocalWritePerMfma:0.820 */
/*  mfmaIndex:10  */
_ds_load_u16_d16_hi v91, v[vgprLocalReadAddrA] offset:6720 // L -> Reg lro=3200 swapByteOffset=0 ti=32 vIdx=0 rIdx=1 oIdx=0 buffer=3 iui=0
_ds_load_u16_d16_hi v92, v[vgprLocalReadAddrA] offset:7360 // L -> Reg lro=3200 swapByteOffset=0 ti=32 vIdx=0 rIdx=3 oIdx=0 buffer=3 iui=0
	;; [unrolled: 1-line block ×6, first 2 shown]
s_waitcnt lgkmcnt(15)                              // lgkmcnt=0 vmcnt=-1wait for prior local read local write old=10, new=16 newLW=0 newLR=6
/* pack scheduling: packAIdx:2, packBIdx:0 */
v_or_b32 v[vgprValuA_X2_I0+0], v[vgprValuA_X2_I0+0], v81 // pack two half Vgpr to one Vgpr
v_or_b32 v[vgprValuA_X2_I0+1], v[vgprValuA_X2_I0+1], v82 // pack two half Vgpr to one Vgpr
	;; [unrolled: 1-line block ×4, first 2 shown]
v_mfma_f32_32x32x8f16 a[0+0:15+0], v[vgprValuA_X2_I0+0+0+0:vgprValuA_X2_I0+0+0+0+1], v[vgprValuB_X2_I0+0+0+0:vgprValuB_X2_I0+0+0+0+1], a[0:15]
/*  mfmaIndex:11  */
_ds_load_u16_d16_hi v97, v[vgprLocalReadAddrA] offset:6912 // L -> Reg lro=3200 swapByteOffset=0 ti=32 vIdx=3 rIdx=1 oIdx=0 buffer=3 iui=0
_ds_load_u16_d16_hi v98, v[vgprLocalReadAddrA] offset:7552 // L -> Reg lro=3200 swapByteOffset=0 ti=32 vIdx=3 rIdx=3 oIdx=0 buffer=3 iui=0
	;; [unrolled: 1-line block ×4, first 2 shown]
/* localReadsVacancy: latencyLeft 5 */
/* pack scheduling: packAIdx:4, packBIdx:0 */
v_or_b32 v[vgprValuA_X2_I0+4], v[vgprValuA_X2_I0+4], v85 // pack two half Vgpr to one Vgpr
v_or_b32 v[vgprValuA_X2_I0+5], v[vgprValuA_X2_I0+5], v86 // pack two half Vgpr to one Vgpr
	;; [unrolled: 1-line block ×4, first 2 shown]
v_mfma_f32_32x32x8f16 a[16+0:31+0], v[vgprValuA_X2_I0+2+0+0:vgprValuA_X2_I0+2+0+0+1], v[vgprValuB_X2_I0+0+0+0:vgprValuB_X2_I0+0+0+0+1], a[16:31]
/*  mfmaIndex:12  */
/* localReadsVacancy: latencyLeft 13 */
/* pack scheduling: packAIdx:6, packBIdx:0 */
v_or_b32 v[vgprValuA_X2_I0+8], v[vgprValuA_X2_I0+8], v89 // pack two half Vgpr to one Vgpr
v_or_b32 v[vgprValuA_X2_I0+9], v[vgprValuA_X2_I0+9], v90 // pack two half Vgpr to one Vgpr
v_mfma_f32_32x32x8f16 a[32+0:47+0], v[vgprValuA_X2_I0+4+0+0:vgprValuA_X2_I0+4+0+0+1], v[vgprValuB_X2_I0+0+0+0:vgprValuB_X2_I0+0+0+0+1], a[32:47]
/*  mfmaIndex:13  */
/* localReadsVacancy: latencyLeft 13 */
v_mfma_f32_32x32x8f16 a[48+0:63+0], v[vgprValuA_X2_I0+6+0+0:vgprValuA_X2_I0+6+0+0+1], v[vgprValuB_X2_I0+0+0+0:vgprValuB_X2_I0+0+0+0+1], a[48:63]
/*  mfmaIndex:14  */
/* localReadsVacancy: latencyLeft 13 */
v_mfma_f32_32x32x8f16 a[64+0:79+0], v[vgprValuA_X2_I0+8+0+0:vgprValuA_X2_I0+8+0+0+1], v[vgprValuB_X2_I0+0+0+0:vgprValuB_X2_I0+0+0+0+1], a[64:79]
/* numPrefetchIter=0 */
/* dataAtIterA=1 numReadsIterA=3 skipReadsIterA=1 readsPerIterA=20 */
/* dataAtIterB=0 numReadsIterB=1 skipReadsIterB=0 readsPerIterB=1 */


/* iter 3 (last unrolled loop) */

/*  grEndMfmaIndex:0, lwStartMfmaIndex:14, lwEndMfmaIndex:14  */
/*  numMfmaForLR:4, barrierMfmaIndex:15, LocalWritePerMfma:0.820 */
/*  mfmaIndex:15  */
s_waitcnt lgkmcnt(0)                               // lgkmcnt=0 vmcnt=-1wait for prior local read local write old=0, new=0 newLW=0 newLR=0
/* pack scheduling: packAIdx:2, packBIdx:0 */
v_or_b32 v[vgprValuA_X3_I0+0], v[vgprValuA_X3_I0+0], v91 // pack two half Vgpr to one Vgpr
v_or_b32 v[vgprValuA_X3_I0+1], v[vgprValuA_X3_I0+1], v92 // pack two half Vgpr to one Vgpr
	;; [unrolled: 1-line block ×4, first 2 shown]
v_mfma_f32_32x32x8f16 a[0+0:15+0], v[vgprValuA_X3_I0+0+0+0:vgprValuA_X3_I0+0+0+0+1], v[vgprValuB_X2_I0+0+2+0:vgprValuB_X2_I0+0+2+0+1], a[0:15]
/*  mfmaIndex:16  */
/* pack scheduling: packAIdx:4, packBIdx:0 */
v_or_b32 v[vgprValuA_X3_I0+4], v[vgprValuA_X3_I0+4], v95 // pack two half Vgpr to one Vgpr
v_or_b32 v[vgprValuA_X3_I0+5], v[vgprValuA_X3_I0+5], v96 // pack two half Vgpr to one Vgpr
	;; [unrolled: 1-line block ×4, first 2 shown]
v_mfma_f32_32x32x8f16 a[16+0:31+0], v[vgprValuA_X3_I0+2+0+0:vgprValuA_X3_I0+2+0+0+1], v[vgprValuB_X2_I0+0+2+0:vgprValuB_X2_I0+0+2+0+1], a[16:31]
/*  mfmaIndex:17  */
/* pack scheduling: packAIdx:6, packBIdx:0 */
v_or_b32 v[vgprValuA_X3_I0+8], v[vgprValuA_X3_I0+8], v99 // pack two half Vgpr to one Vgpr
v_or_b32 v[vgprValuA_X3_I0+9], v[vgprValuA_X3_I0+9], v100 // pack two half Vgpr to one Vgpr
v_mfma_f32_32x32x8f16 a[32+0:47+0], v[vgprValuA_X3_I0+4+0+0:vgprValuA_X3_I0+4+0+0+1], v[vgprValuB_X2_I0+0+2+0:vgprValuB_X2_I0+0+2+0+1], a[32:47]
/*  mfmaIndex:18  */
v_mfma_f32_32x32x8f16 a[48+0:63+0], v[vgprValuA_X3_I0+6+0+0:vgprValuA_X3_I0+6+0+0+1], v[vgprValuB_X2_I0+0+2+0:vgprValuB_X2_I0+0+2+0+1], a[48:63]
/*  mfmaIndex:19  */
v_mfma_f32_32x32x8f16 a[64+0:79+0], v[vgprValuA_X3_I0+8+0+0:vgprValuA_X3_I0+8+0+0+1], v[vgprValuB_X2_I0+0+2+0:vgprValuB_X2_I0+0+2+0+1], a[64:79]
/* numPrefetchIter=0 */
/* dataAtIterA=2 numReadsIterA=3 skipReadsIterA=0 readsPerIterA=20 */
/* dataAtIterB=0 numReadsIterB=1 skipReadsIterB=0 readsPerIterB=1 */

PrefetchGlobalLastIterEnd_5:


/******************************************/
/* Tail Loop                              */
/******************************************/


/* local write reset offsets a */

v_and_b32 v[vgprLocalWriteAddrA], 0xf07fff, v[vgprLocalWriteAddrA] // reset to Red


/* local write reset offsets b */

v_and_b32 v[vgprLocalWriteAddrB], 0xf07fff, v[vgprLocalWriteAddrB] // reset to Red


//numIterL = (((sizeL % LOCAL_DEPTHU) + LOCAL_SPLITU - 1) / LOCAL_SPLITU)
s_and_b32 s[sgprLoopCounterL], 31, s[sgprSizesSum+0] // s[sgprLoopCounterL] = s[sgprSizesSum+0] % 32
s_cmp_eq_u32 s[sgprLoopCounterL], 0x0              // numIterL == 0
s_cbranch_scc1 SkipTailLoopL_8                     // skip to end of tail loop b/c numIter==0
s_mov_b32 s[sgprOrigLoopCounter], 0                // repurpose to count each localRead increment


/* Update M0 for DTLDS */


	;; [unrolled: 1-line block ×3, first 2 shown]
/* global read a */

/* g2l=0, load component 0 */
_buffer_load_d16_b16 v[vgprG2LA+0+0], v[vgprGlobalReadOffsetA+0], s[sgprSrdA:sgprSrdA+3], 0, offen offset:0 // load one buffer value
/* g2l=0, load component 1 */
_buffer_load_d16_hi_b16 v81, v[vgprGlobalReadOffsetA+0], s[sgprSrdA:sgprSrdA+3], 0, offen offset:2 // load one buffer value
s_waitcnt vmcnt(0)
v_or_b32 v[vgprG2LA+0+0], v[vgprG2LA+0+0], v81 // HasEccHalf: pack
/* g2l=0, load component 2 */
_buffer_load_d16_b16 v[vgprG2LA+0+1], v[vgprGlobalReadOffsetA+0], s[sgprSrdA:sgprSrdA+3], 0, offen offset:4 // load one buffer value
/* g2l=0, load component 3 */
_buffer_load_d16_hi_b16 v81, v[vgprGlobalReadOffsetA+0], s[sgprSrdA:sgprSrdA+3], 0, offen offset:6 // load one buffer value
s_waitcnt vmcnt(0)
v_or_b32 v[vgprG2LA+0+1], v[vgprG2LA+0+1], v81 // HasEccHalf: pack
	;; [unrolled: 6-line block ×10, first 2 shown]


/* Update M0 for DTLDS */


	;; [unrolled: 1-line block ×3, first 2 shown]
/* global read b */

/* g2l=0, load component 0 */
_buffer_load_d16_b16 v[vgprG2LB+0+0], v[vgprGlobalReadOffsetB+0], s[sgprSrdB:sgprSrdB+3], 0, offen offset:0 // load one buffer value
/* g2l=0, load component 1 */
_buffer_load_d16_hi_b16 v81, v[vgprGlobalReadOffsetB+0], s[sgprSrdB:sgprSrdB+3], 0, offen offset:2 // load one buffer value
s_waitcnt vmcnt(0)
v_or_b32 v[vgprG2LB+0+0], v[vgprG2LB+0+0], v81 // HasEccHalf: pack
/* g2l=0, load component 2 */
_buffer_load_d16_b16 v[vgprG2LB+0+1], v[vgprGlobalReadOffsetB+0], s[sgprSrdB:sgprSrdB+3], 0, offen offset:4 // load one buffer value
/* g2l=0, load component 3 */
_buffer_load_d16_hi_b16 v81, v[vgprGlobalReadOffsetB+0], s[sgprSrdB:sgprSrdB+3], 0, offen offset:6 // load one buffer value
s_waitcnt vmcnt(0)
v_or_b32 v[vgprG2LB+0+1], v[vgprG2LB+0+1], v81 // HasEccHalf: pack
	;; [unrolled: 6-line block ×8, first 2 shown]

s_waitcnt vmcnt(0)                                 // lgkmcnt=-1 vmcnt=02wait for global read

// Skip force waitcnt0
s_barrier //


/* Done global A/B reads */


	;; [unrolled: 1-line block ×4, first 2 shown]
/* local write a */

_ds_store_b64 v[vgprLocalWriteAddrA], v[vgprG2LA+0:vgprG2LA+0+1] offset:0 // lwoA_0_0_0_0 = (0*LSCA) + (0*LSPA)(*MT0I+PAD) = 0
_ds_store_b64 v[vgprLocalWriteAddrA], v[vgprG2LA+2:vgprG2LA+2+1] offset:64 // lwoA_1_0_0_0 = (1*LSCA) + (0*LSPA)(*MT0I+PAD) = 64
_ds_store_b64 v[vgprLocalWriteAddrA], v[vgprG2LA+4:vgprG2LA+4+1] offset:128 // lwoA_2_0_0_0 = (2*LSCA) + (0*LSPA)(*MT0I+PAD) = 128
_ds_store_b64 v[vgprLocalWriteAddrA], v[vgprG2LA+6:vgprG2LA+6+1] offset:192 // lwoA_3_0_0_0 = (3*LSCA) + (0*LSPA)(*MT0I+PAD) = 192
_ds_store_b64 v[vgprLocalWriteAddrA], v[vgprG2LA+8:vgprG2LA+8+1] offset:256 // lwoA_4_0_0_0 = (4*LSCA) + (0*LSPA)(*MT0I+PAD) = 256


/* local write b */

_ds_store_b64 v[vgprLocalWriteAddrB], v[vgprG2LB+0:vgprG2LB+0+1] offset:0 // lwoB_0_0_0_0 = (0*LSCB)*(MT1J+PAD) + (0*LSPB) = 0
_ds_store_b64 v[vgprLocalWriteAddrB], v[vgprG2LB+2:vgprG2LB+2+1] offset:576 // lwoB_0_0_1_0 = (0*LSCB)*(MT1J+PAD) + (1*LSPB) = 576
_ds_store_b64 v[vgprLocalWriteAddrB], v[vgprG2LB+4:vgprG2LB+4+1] offset:1152 // lwoB_0_0_2_0 = (0*LSCB)*(MT1J+PAD) + (2*LSPB) = 1152
_ds_store_b64 v[vgprLocalWriteAddrB], v[vgprG2LB+6:vgprG2LB+6+1] offset:1728 // lwoB_0_0_3_0 = (0*LSCB)*(MT1J+PAD) + (3*LSPB) = 1728


/* Recalc local read offsets */

/*lr0I*/
v_and_b32 v82, 63, v[vgprSerial]                   // 0. thread id in wave: wtid = tid % wavelength(64)
v_and_b32 v81, 31, v82                             // 1. N offset: nIdx = wtid % MI_N(32)
                                                   // 1. N offset: nOffset = nIdx * nStride(1) (multiplier is 1, do nothing)
                                                   // 2. block offset: bnIdx = bnIdx % num1DBlocks(1) is 0. do nothing
                                                   // 4. apply VectorWidth: bnOffset = bnOffset * vw(1) (multiplier is 1, do nothing)
v_lshrrev_b32 v82, 5, v82                          // 5. K offset: kIdx = wtid / (MIN(32) * MIBB(1))
s_mov_b32 s31, 0x280                               // 5. K offset: lrKOffset = kIdx * mStride(640)
v_mul_lo_u32 v82, s31, v82                         // 5. K offset: lrKOffset = kIdx * mStride(640)
_v_add_u32 v81, v82, v81                           // 6. offset in wave: lrOffset = bnOffset + lrKOffset
/*lr1J*/
v_and_b32 v83, 63, v[vgprSerial]                   // 0. thread id in wave: wtid = tid % wavelength(64)
v_and_b32 v82, 31, v83                             // 1. N offset: nIdx = wtid % MI_N(32)
v_lshlrev_b32 v82, 0x5, v82                        // 1. N offset: nOffset = nIdx * nStride(32)
                                                   // 2. block offset: bnIdx = bnIdx % num1DBlocks(1) is 0. do nothing
                                                   // 4. apply VectorWidth: bnOffset = bnOffset * vw(1) (multiplier is 1, do nothing)
v_lshrrev_b32 v83, 5, v83                          // 5. K offset: kIdx = wtid / (MIN(32) * MIBB(1))
v_lshlrev_b32 v83, 0x2, v83                        // 5. K offset: lrKOffset = kIdx * mStride(4)
_v_add_u32 v82, v83, v82                           // 6. offset in wave: lrOffset = bnOffset + lrKOffset
v_lshrrev_b32 v84, 6, v[vgprSerial]                // 7. wave offset in N dimen: wtid = tid / dividedForWaveId(64)
v_and_b32 v83, 3, v84                              // 7. wave offset in M dimen: wtid0 = wtid / num1DWaves(4)
v_lshlrev_b32 v83, 0xa, v83                        // 7. wave offset in M dimen: wOffset = wtid0 * W0Stride(1024)
_v_add_u32 v82, v83, v82                           // 8. final local read offset: flrOffset = lrOffset + WOffset
v_lshlrev_b32 v[vgprLocalReadAddrA], 0x1, v81      // Final Offset: offset = (lro0)*bpe
/* N/A */
v_lshlrev_b32 v[vgprLocalReadAddrB], 0x1, v82      // Final Offset: offset = (lro1)*bpe
v_lshrrev_b32 v81, 7, v[vgprLocalReadAddrB]        // Final Offset: padding 8 per block 128
v_lshlrev_b32 v81, 0x4, v81                        // Final Offset: padding 8 per block 128
_v_add_u32 v[vgprLocalReadAddrB], v81, v[vgprLocalReadAddrB] // Final Offset: add padding 8 per block 128
_v_add_co_u32 v[vgprLocalReadAddrB+0], vcc, 0x2800, v[vgprLocalReadAddrB+0] //  += LdsOffsetB (lower)

s_waitcnt lgkmcnt(0)                               // lgkmcnt=0 vmcnt=-15wait for local write

// Skip force waitcnt0
s_barrier //


/* local read reset offsets a */


/* localReadResetOffsets */
/* handled internally */
v_and_b32 v[vgprLocalReadAddrA], 0x7fff, v[vgprLocalReadAddrA] // reset Red,Blk -> Red


/* local read reset offsets b */


/* localReadResetOffsets */
/* handled internally */
v_and_b32 v[vgprLocalReadAddrB], 0x7fff, v[vgprLocalReadAddrB] // reset Red,Blk -> Red


/* local read init pointers a */


/* localReadInitPointers */


/* local read init pointers b */


/* localReadInitPointers */


/* tail loop: macs */

TailLoopBeginL_6:


/* tail loop unroll iter 0 */


/* local read a */

_ds_load_u16 v[vgprValuA_X0_I0+0], v[vgprLocalReadAddrA] offset:0 // L -> Reg lro=0 swapByteOffset=0 ti=32 vIdx=0 rIdx=0 oIdx=0 buffer=0 iui=0
_ds_load_u16_d16_hi v81, v[vgprLocalReadAddrA] offset:320 // L -> Reg lro=0 swapByteOffset=0 ti=32 vIdx=0 rIdx=1 oIdx=0 buffer=0 iui=0
_ds_load_u16 v[vgprValuA_X0_I0+1], v[vgprLocalReadAddrA] offset:640 // L -> Reg lro=0 swapByteOffset=0 ti=32 vIdx=0 rIdx=2 oIdx=0 buffer=0 iui=0
_ds_load_u16_d16_hi v82, v[vgprLocalReadAddrA] offset:960 // L -> Reg lro=0 swapByteOffset=0 ti=32 vIdx=0 rIdx=3 oIdx=0 buffer=0 iui=0
	;; [unrolled: 2-line block ×10, first 2 shown]


/* local read b */

_ds_load_b64 v[vgprValuB_X0_I0+0:vgprValuB_X0_I0+0+1], v[vgprLocalReadAddrB] offset:0 // L -> Reg lro=0 swapByteOffset=0 ti=128 vIdx=0 rIdx=0 oIdx=0 buffer=0 iui=0


/* local read inc a */

s_mov_b32 s31, 0xa00                               // inc
_v_add_co_u32 v[vgprLocalReadAddrA], vcc, s31, v[vgprLocalReadAddrA] // lrA += 2560 (LSU*(MT+PAD)*bpe)


/* local read inc b */

s_mov_b32 s31, 0x10                                // inc
_v_add_co_u32 v[vgprLocalReadAddrB], vcc, s31, v[vgprLocalReadAddrB] // lrB += 16 (LSU*bpe)

s_waitcnt lgkmcnt(0)                               // lgkmcnt=0 vmcnt=-14wait for local read

v_or_b32 v[vgprValuA_X0_I0+0], v[vgprValuA_X0_I0+0], v81 // pack two half Vgpr to one Vgpr
v_or_b32 v[vgprValuA_X0_I0+1], v[vgprValuA_X0_I0+1], v82 // pack two half Vgpr to one Vgpr
	;; [unrolled: 1-line block ×10, first 2 shown]


/* tail loop mfma iter 0: numReadsIterCoalescedA=1, numReadsIterCoalescedB=1 */
v_and_b32 v81, 63, v[vgprSerial]                   // v81 = v[vgprSerial] % 64
v_lshrrev_b32 v81, 5, v81                          // v81 = v81 / 32
v_lshlrev_b32 v81, 0x2, v81                        // v81 = v81 * 4
v_cmp_ge_i32 s[32:33], v81, s[sgprLoopCounterL]    // check K index >= Size L
v_cndmask_b32 v[vgprValuB_X0_I0+0+0+0+0], v[vgprValuB_X0_I0+0+0+0+0], 0x0, s[32:33] // set 0 if K_idx >= sizeL
v_cndmask_b32 v[vgprValuB_X0_I0+0+0+0+1], v[vgprValuB_X0_I0+0+0+0+1], 0x0, s[32:33] // set 0 if K_idx >= sizeL
_v_sub_u32 v81, s[sgprLoopCounterL], v81           // get distance between size and k index
v_cmp_lt_i32 s[32:33], v81, 4                      // set partial 0 if distance less than input per thread
s_and_b32 s34, s[sgprLoopCounterL], 3              // get inputs for edge thread
s_sub_u32 s34, 4, s34                              // use shift to fill 0 for outside element
s_lshl_b32 s34, s34, 4                             // use shift to fill 0 for outside element
v_mov_b32 v82, -1                                  // set 0xffffffff
v_mov_b32 v83, -1                                  // set 0xffffffff
v_lshrrev_b64 v[82:83], s34, v[82:83]              // rshift mask for partial k
v_cndmask_b32 v82, -1, v82, s[32:33]               // select shifted mask for partial k
v_cndmask_b32 v83, -1, v83, s[32:33]               // select shifted mask for partial k
v_and_b32 v[vgprValuB_X0_I0+0+0+0+0], v[vgprValuB_X0_I0+0+0+0+0], v82 // 
v_and_b32 v[vgprValuB_X0_I0+0+0+0+1], v[vgprValuB_X0_I0+0+0+0+1], v83 // 
s_nop 1
v_mfma_f32_32x32x8f16 a[0+0:15+0], v[vgprValuA_X0_I0+0+0+0:vgprValuA_X0_I0+0+0+0+1], v[vgprValuB_X0_I0+0+0+0:vgprValuB_X0_I0+0+0+0+1], a[0:15]
v_mfma_f32_32x32x8f16 a[16+0:31+0], v[vgprValuA_X0_I0+2+0+0:vgprValuA_X0_I0+2+0+0+1], v[vgprValuB_X0_I0+0+0+0:vgprValuB_X0_I0+0+0+0+1], a[16:31]
	;; [unrolled: 1-line block ×5, first 2 shown]


/* closeLoop loopL finalLoop=0 tailLoop=1 */
s_sub_i32 s[sgprLoopCounterL], s[sgprLoopCounterL], 0x8 // dec counterL (tailLoop)
s_add_u32 s[sgprOrigLoopCounter], s[sgprOrigLoopCounter], 0x8 // inc counterL
s_cmp_le_i32 s[sgprLoopCounterL], 0x0              // counterL<=0
s_cbranch_scc1 TailLoopEndL_7                      // exit LoopL


/* tail loop unroll iter 1 */


/* local read a */

_ds_load_u16 v[vgprValuA_X1_I0+0], v[vgprLocalReadAddrA] offset:0 // L -> Reg lro=0 swapByteOffset=0 ti=32 vIdx=0 rIdx=0 oIdx=0 buffer=1 iui=0
_ds_load_u16_d16_hi v81, v[vgprLocalReadAddrA] offset:320 // L -> Reg lro=0 swapByteOffset=0 ti=32 vIdx=0 rIdx=1 oIdx=0 buffer=1 iui=0
_ds_load_u16 v[vgprValuA_X1_I0+1], v[vgprLocalReadAddrA] offset:640 // L -> Reg lro=0 swapByteOffset=0 ti=32 vIdx=0 rIdx=2 oIdx=0 buffer=1 iui=0
_ds_load_u16_d16_hi v82, v[vgprLocalReadAddrA] offset:960 // L -> Reg lro=0 swapByteOffset=0 ti=32 vIdx=0 rIdx=3 oIdx=0 buffer=1 iui=0
	;; [unrolled: 2-line block ×10, first 2 shown]


/* local read b */

_ds_load_b64 v[vgprValuB_X1_I0+0:vgprValuB_X1_I0+0+1], v[vgprLocalReadAddrB] offset:0 // L -> Reg lro=0 swapByteOffset=0 ti=128 vIdx=0 rIdx=0 oIdx=0 buffer=1 iui=0


/* local read inc a */

s_mov_b32 s31, 0xa00                               // inc
_v_add_co_u32 v[vgprLocalReadAddrA], vcc, s31, v[vgprLocalReadAddrA] // lrA += 2560 (LSU*(MT+PAD)*bpe)


/* local read inc b */

s_mov_b32 s31, 0x10                                // inc
_v_add_co_u32 v[vgprLocalReadAddrB], vcc, s31, v[vgprLocalReadAddrB] // lrB += 16 (LSU*bpe)

s_waitcnt lgkmcnt(0)                               // lgkmcnt=0 vmcnt=-14wait for local read

v_or_b32 v[vgprValuA_X1_I0+0], v[vgprValuA_X1_I0+0], v81 // pack two half Vgpr to one Vgpr
v_or_b32 v[vgprValuA_X1_I0+1], v[vgprValuA_X1_I0+1], v82 // pack two half Vgpr to one Vgpr
	;; [unrolled: 1-line block ×10, first 2 shown]


/* tail loop mfma iter 1: numReadsIterCoalescedA=1, numReadsIterCoalescedB=1 */
v_and_b32 v81, 63, v[vgprSerial]                   // v81 = v[vgprSerial] % 64
v_lshrrev_b32 v81, 5, v81                          // v81 = v81 / 32
v_lshlrev_b32 v81, 0x2, v81                        // v81 = v81 * 4
v_cmp_ge_i32 s[32:33], v81, s[sgprLoopCounterL]    // check K index >= Size L
v_cndmask_b32 v[vgprValuB_X1_I0+0+0+0+0], v[vgprValuB_X1_I0+0+0+0+0], 0x0, s[32:33] // set 0 if K_idx >= sizeL
v_cndmask_b32 v[vgprValuB_X1_I0+0+0+0+1], v[vgprValuB_X1_I0+0+0+0+1], 0x0, s[32:33] // set 0 if K_idx >= sizeL
_v_sub_u32 v81, s[sgprLoopCounterL], v81           // get distance between size and k index
v_cmp_lt_i32 s[32:33], v81, 4                      // set partial 0 if distance less than input per thread
s_and_b32 s34, s[sgprLoopCounterL], 3              // get inputs for edge thread
s_sub_u32 s34, 4, s34                              // use shift to fill 0 for outside element
s_lshl_b32 s34, s34, 4                             // use shift to fill 0 for outside element
v_mov_b32 v82, -1                                  // set 0xffffffff
v_mov_b32 v83, -1                                  // set 0xffffffff
v_lshrrev_b64 v[82:83], s34, v[82:83]              // rshift mask for partial k
v_cndmask_b32 v82, -1, v82, s[32:33]               // select shifted mask for partial k
v_cndmask_b32 v83, -1, v83, s[32:33]               // select shifted mask for partial k
v_and_b32 v[vgprValuB_X1_I0+0+0+0+0], v[vgprValuB_X1_I0+0+0+0+0], v82 // 
v_and_b32 v[vgprValuB_X1_I0+0+0+0+1], v[vgprValuB_X1_I0+0+0+0+1], v83 // 
s_nop 1
v_mfma_f32_32x32x8f16 a[0+0:15+0], v[vgprValuA_X1_I0+0+0+0:vgprValuA_X1_I0+0+0+0+1], v[vgprValuB_X1_I0+0+0+0:vgprValuB_X1_I0+0+0+0+1], a[0:15]
v_mfma_f32_32x32x8f16 a[16+0:31+0], v[vgprValuA_X1_I0+2+0+0:vgprValuA_X1_I0+2+0+0+1], v[vgprValuB_X1_I0+0+0+0:vgprValuB_X1_I0+0+0+0+1], a[16:31]
	;; [unrolled: 1-line block ×5, first 2 shown]


/* closeLoop loopL finalLoop=0 tailLoop=1 */
s_sub_i32 s[sgprLoopCounterL], s[sgprLoopCounterL], 0x8 // dec counterL (tailLoop)
s_add_u32 s[sgprOrigLoopCounter], s[sgprOrigLoopCounter], 0x8 // inc counterL
s_cmp_le_i32 s[sgprLoopCounterL], 0x0              // counterL<=0
s_cbranch_scc1 TailLoopEndL_7                      // exit LoopL


/* tail loop unroll iter 2 */


/* local read a */

_ds_load_u16 v[vgprValuA_X2_I0+0], v[vgprLocalReadAddrA] offset:0 // L -> Reg lro=0 swapByteOffset=0 ti=32 vIdx=0 rIdx=0 oIdx=0 buffer=2 iui=0
_ds_load_u16_d16_hi v81, v[vgprLocalReadAddrA] offset:320 // L -> Reg lro=0 swapByteOffset=0 ti=32 vIdx=0 rIdx=1 oIdx=0 buffer=2 iui=0
_ds_load_u16 v[vgprValuA_X2_I0+1], v[vgprLocalReadAddrA] offset:640 // L -> Reg lro=0 swapByteOffset=0 ti=32 vIdx=0 rIdx=2 oIdx=0 buffer=2 iui=0
_ds_load_u16_d16_hi v82, v[vgprLocalReadAddrA] offset:960 // L -> Reg lro=0 swapByteOffset=0 ti=32 vIdx=0 rIdx=3 oIdx=0 buffer=2 iui=0
	;; [unrolled: 2-line block ×10, first 2 shown]


/* local read b */

_ds_load_b64 v[vgprValuB_X2_I0+0:vgprValuB_X2_I0+0+1], v[vgprLocalReadAddrB] offset:0 // L -> Reg lro=0 swapByteOffset=0 ti=128 vIdx=0 rIdx=0 oIdx=0 buffer=2 iui=0


/* local read inc a */

s_mov_b32 s31, 0xa00                               // inc
_v_add_co_u32 v[vgprLocalReadAddrA], vcc, s31, v[vgprLocalReadAddrA] // lrA += 2560 (LSU*(MT+PAD)*bpe)


/* local read inc b */

s_mov_b32 s31, 0x10                                // inc
_v_add_co_u32 v[vgprLocalReadAddrB], vcc, s31, v[vgprLocalReadAddrB] // lrB += 16 (LSU*bpe)

s_waitcnt lgkmcnt(0)                               // lgkmcnt=0 vmcnt=-14wait for local read

v_or_b32 v[vgprValuA_X2_I0+0], v[vgprValuA_X2_I0+0], v81 // pack two half Vgpr to one Vgpr
v_or_b32 v[vgprValuA_X2_I0+1], v[vgprValuA_X2_I0+1], v82 // pack two half Vgpr to one Vgpr
	;; [unrolled: 1-line block ×10, first 2 shown]


/* tail loop mfma iter 2: numReadsIterCoalescedA=1, numReadsIterCoalescedB=1 */
v_and_b32 v81, 63, v[vgprSerial]                   // v81 = v[vgprSerial] % 64
v_lshrrev_b32 v81, 5, v81                          // v81 = v81 / 32
v_lshlrev_b32 v81, 0x2, v81                        // v81 = v81 * 4
v_cmp_ge_i32 s[32:33], v81, s[sgprLoopCounterL]    // check K index >= Size L
v_cndmask_b32 v[vgprValuB_X2_I0+0+0+0+0], v[vgprValuB_X2_I0+0+0+0+0], 0x0, s[32:33] // set 0 if K_idx >= sizeL
v_cndmask_b32 v[vgprValuB_X2_I0+0+0+0+1], v[vgprValuB_X2_I0+0+0+0+1], 0x0, s[32:33] // set 0 if K_idx >= sizeL
_v_sub_u32 v81, s[sgprLoopCounterL], v81           // get distance between size and k index
v_cmp_lt_i32 s[32:33], v81, 4                      // set partial 0 if distance less than input per thread
s_and_b32 s34, s[sgprLoopCounterL], 3              // get inputs for edge thread
s_sub_u32 s34, 4, s34                              // use shift to fill 0 for outside element
s_lshl_b32 s34, s34, 4                             // use shift to fill 0 for outside element
v_mov_b32 v82, -1                                  // set 0xffffffff
v_mov_b32 v83, -1                                  // set 0xffffffff
v_lshrrev_b64 v[82:83], s34, v[82:83]              // rshift mask for partial k
v_cndmask_b32 v82, -1, v82, s[32:33]               // select shifted mask for partial k
v_cndmask_b32 v83, -1, v83, s[32:33]               // select shifted mask for partial k
v_and_b32 v[vgprValuB_X2_I0+0+0+0+0], v[vgprValuB_X2_I0+0+0+0+0], v82 // 
v_and_b32 v[vgprValuB_X2_I0+0+0+0+1], v[vgprValuB_X2_I0+0+0+0+1], v83 // 
s_nop 1
v_mfma_f32_32x32x8f16 a[0+0:15+0], v[vgprValuA_X2_I0+0+0+0:vgprValuA_X2_I0+0+0+0+1], v[vgprValuB_X2_I0+0+0+0:vgprValuB_X2_I0+0+0+0+1], a[0:15]
v_mfma_f32_32x32x8f16 a[16+0:31+0], v[vgprValuA_X2_I0+2+0+0:vgprValuA_X2_I0+2+0+0+1], v[vgprValuB_X2_I0+0+0+0:vgprValuB_X2_I0+0+0+0+1], a[16:31]
	;; [unrolled: 1-line block ×5, first 2 shown]


/* closeLoop loopL finalLoop=0 tailLoop=1 */
s_sub_i32 s[sgprLoopCounterL], s[sgprLoopCounterL], 0x8 // dec counterL (tailLoop)
s_add_u32 s[sgprOrigLoopCounter], s[sgprOrigLoopCounter], 0x8 // inc counterL
s_cmp_le_i32 s[sgprLoopCounterL], 0x0              // counterL<=0
s_cbranch_scc1 TailLoopEndL_7                      // exit LoopL


/* tail loop unroll iter 3 */


/* local read a */

_ds_load_u16 v[vgprValuA_X3_I0+0], v[vgprLocalReadAddrA] offset:0 // L -> Reg lro=0 swapByteOffset=0 ti=32 vIdx=0 rIdx=0 oIdx=0 buffer=3 iui=0
_ds_load_u16_d16_hi v81, v[vgprLocalReadAddrA] offset:320 // L -> Reg lro=0 swapByteOffset=0 ti=32 vIdx=0 rIdx=1 oIdx=0 buffer=3 iui=0
_ds_load_u16 v[vgprValuA_X3_I0+1], v[vgprLocalReadAddrA] offset:640 // L -> Reg lro=0 swapByteOffset=0 ti=32 vIdx=0 rIdx=2 oIdx=0 buffer=3 iui=0
_ds_load_u16_d16_hi v82, v[vgprLocalReadAddrA] offset:960 // L -> Reg lro=0 swapByteOffset=0 ti=32 vIdx=0 rIdx=3 oIdx=0 buffer=3 iui=0
	;; [unrolled: 2-line block ×10, first 2 shown]


/* local read b */

_ds_load_b64 v[vgprValuB_X3_I0+0:vgprValuB_X3_I0+0+1], v[vgprLocalReadAddrB] offset:0 // L -> Reg lro=0 swapByteOffset=0 ti=128 vIdx=0 rIdx=0 oIdx=0 buffer=3 iui=0


/* local read inc a */

s_mov_b32 s31, 0xa00                               // inc
_v_add_co_u32 v[vgprLocalReadAddrA], vcc, s31, v[vgprLocalReadAddrA] // lrA += 2560 (LSU*(MT+PAD)*bpe)


/* local read inc b */

s_mov_b32 s31, 0x10                                // inc
_v_add_co_u32 v[vgprLocalReadAddrB], vcc, s31, v[vgprLocalReadAddrB] // lrB += 16 (LSU*bpe)

s_waitcnt lgkmcnt(0)                               // lgkmcnt=0 vmcnt=-14wait for local read

v_or_b32 v[vgprValuA_X3_I0+0], v[vgprValuA_X3_I0+0], v81 // pack two half Vgpr to one Vgpr
v_or_b32 v[vgprValuA_X3_I0+1], v[vgprValuA_X3_I0+1], v82 // pack two half Vgpr to one Vgpr
	;; [unrolled: 1-line block ×10, first 2 shown]


/* tail loop mfma iter 3: numReadsIterCoalescedA=1, numReadsIterCoalescedB=1 */
v_and_b32 v81, 63, v[vgprSerial]                   // v81 = v[vgprSerial] % 64
v_lshrrev_b32 v81, 5, v81                          // v81 = v81 / 32
v_lshlrev_b32 v81, 0x2, v81                        // v81 = v81 * 4
v_cmp_ge_i32 s[32:33], v81, s[sgprLoopCounterL]    // check K index >= Size L
v_cndmask_b32 v[vgprValuB_X3_I0+0+0+0+0], v[vgprValuB_X3_I0+0+0+0+0], 0x0, s[32:33] // set 0 if K_idx >= sizeL
v_cndmask_b32 v[vgprValuB_X3_I0+0+0+0+1], v[vgprValuB_X3_I0+0+0+0+1], 0x0, s[32:33] // set 0 if K_idx >= sizeL
_v_sub_u32 v81, s[sgprLoopCounterL], v81           // get distance between size and k index
v_cmp_lt_i32 s[32:33], v81, 4                      // set partial 0 if distance less than input per thread
s_and_b32 s34, s[sgprLoopCounterL], 3              // get inputs for edge thread
s_sub_u32 s34, 4, s34                              // use shift to fill 0 for outside element
s_lshl_b32 s34, s34, 4                             // use shift to fill 0 for outside element
v_mov_b32 v82, -1                                  // set 0xffffffff
v_mov_b32 v83, -1                                  // set 0xffffffff
v_lshrrev_b64 v[82:83], s34, v[82:83]              // rshift mask for partial k
v_cndmask_b32 v82, -1, v82, s[32:33]               // select shifted mask for partial k
v_cndmask_b32 v83, -1, v83, s[32:33]               // select shifted mask for partial k
v_and_b32 v[vgprValuB_X3_I0+0+0+0+0], v[vgprValuB_X3_I0+0+0+0+0], v82 // 
v_and_b32 v[vgprValuB_X3_I0+0+0+0+1], v[vgprValuB_X3_I0+0+0+0+1], v83 // 
s_nop 1
v_mfma_f32_32x32x8f16 a[0+0:15+0], v[vgprValuA_X3_I0+0+0+0:vgprValuA_X3_I0+0+0+0+1], v[vgprValuB_X3_I0+0+0+0:vgprValuB_X3_I0+0+0+0+1], a[0:15]
v_mfma_f32_32x32x8f16 a[16+0:31+0], v[vgprValuA_X3_I0+2+0+0:vgprValuA_X3_I0+2+0+0+1], v[vgprValuB_X3_I0+0+0+0:vgprValuB_X3_I0+0+0+0+1], a[16:31]
	;; [unrolled: 1-line block ×5, first 2 shown]


/* closeLoop loopL finalLoop=1 tailLoop=1 */
s_sub_i32 s[sgprLoopCounterL], s[sgprLoopCounterL], 0x8 // dec counterL (tailLoop)
s_add_u32 s[sgprOrigLoopCounter], s[sgprOrigLoopCounter], 0x8 // inc counterL
s_cmp_le_i32 s[sgprLoopCounterL], 0x0              // counterL<=0
s_cbranch_scc0 TailLoopBeginL_6                    // restart LoopL
TailLoopEndL_7:

SkipTailLoopL_8:

Summation_End_29:
/* endSummation: add vgpr [0...78) to pool */

/* Mapping of Acc register -> C Vgpr register */


/* shift vector components d0 */

v_mov_b32 v1, s[sgprWorkGroup0]                    // 
v_mul_i32_i24 v1, -0xa0, v1                        // wg*MT
_v_add_co_u32 v1, vcc, s[sgprSizesFree+0], v1      // wgMT = Size - wg*MT
v_mov_b32 v2, 0xa0                                 // MT
v_min_u32 v1, v2, v1                               // wgMT = (wgMT < MT) ? wgMT : MT
v_lshrrev_b32 v0, 6, v[vgprSerial]                 // v0 = v[vgprSerial] / 64
v_and_b32 v3, 0, v0                                // v3 = v0 % 1
v_lshrrev_b32 v0, 5, v1                            // v0 = v1 / 32
v_and_b32 v4, 0, v0                                // v4 = v0 % 1
v_cmp_eq_u32 s[32:33], v4, v3                      // wave_id == block_belong_to_wave?
v_cndmask_b32 v1, v2, v1, s[32:33]                 // wgMT = (wgMT < MT) ? wgMT : MT

/* mbReg: which mb block need to shift, mb(matrixInstCoal(32) * VectorWidth(1)) */
v_lshrrev_b32 v2, 3, v1                            // v2 = v1 / 8
v_lshlrev_b32 v4, 0x2, v3                          // v4 = v3 * 4
_v_sub_u32 v2, v2, v4                              // 

/* gbReg: glvw block id */
v_lshrrev_b32 v4, 2, v1                            // v4 = v1 / 4

/* tgbReg: glvw block id */
v_lshrrev_b32 v0, 5, v[vgprSerial]                 // v0 = v[vgprSerial] / 32
v_and_b32 v5, 1, v0                                // v5 = v0 % 2
v_lshlrev_b32 v5, 0x2, v5                          // v5 = v5 * 4
v_lshrrev_b32 v5, 2, v5                            // v5 = v5 / 4
v_lshlrev_b32 v3, 0x3, v3                          // v3 = v3 * 8
_v_add_co_u32 v5, vcc, v3, v5                      // tgbReg = (tid_coal * continOut) / GLVW
_v_sub_u32 v4, v4, v5                              // 

/* vwReg: glvw in which vw block? */
v_and_b32 v3, 3, v1                                // permute register between threads
v_lshrrev_b32 v3, 2, v3                            // permute register between threads

/* rReg : reminder of M_size % GlobalLoadVectorWidth */
v_and_b32 v5, 3, v1                                // v5 = v1 % 4
v_cmp_eq_u32 vcc, v5, 0x1                          // wgMT%VW == 1
s_cbranch_vccnz label_0030                         // branch to shift d0 r=1
v_cmp_eq_u32 vcc, v5, 0x2                          // wgMT%VW == 2
s_cbranch_vccnz label_0071                         // branch to shift d0 r=2
v_cmp_eq_u32 vcc, v5, 0x3                          // wgMT%VW == 3
s_cbranch_vccnz label_0112                         // branch to shift d0 r=3
s_branch label_0153                                // no shifting

/******************************************/
/* shift d0 r=1                           */
/******************************************/
label_0030:
v_cmp_eq_u32 vcc, v2, 0x0                          // 
s_cbranch_vccnz label_0031                         // branch to shift d0 r1 mb0
v_cmp_eq_u32 vcc, v2, 0x1                          // 
s_cbranch_vccnz label_0033                         // branch to shift d0 r1 mb1
v_cmp_eq_u32 vcc, v2, 0x2                          // 
s_cbranch_vccnz label_0035                         // branch to shift d0 r1 mb2
v_cmp_eq_u32 vcc, v2, 0x3                          // 
s_cbranch_vccnz label_0037                         // branch to shift d0 r1 mb3
v_cmp_eq_u32 vcc, v2, 0x4                          // 
s_cbranch_vccnz label_0039                         // branch to shift d0 r1 mb4
v_cmp_eq_u32 vcc, v2, 0x5                          // 
s_cbranch_vccnz label_0041                         // branch to shift d0 r1 mb5
v_cmp_eq_u32 vcc, v2, 0x6                          // 
s_cbranch_vccnz label_0043                         // branch to shift d0 r1 mb6
v_cmp_eq_u32 vcc, v2, 0x7                          // 
s_cbranch_vccnz label_0045                         // branch to shift d0 r1 mb7
v_cmp_eq_u32 vcc, v2, 0x8                          // 
s_cbranch_vccnz label_0047                         // branch to shift d0 r1 mb8
v_cmp_eq_u32 vcc, v2, 0x9                          // 
s_cbranch_vccnz label_0049                         // branch to shift d0 r1 mb9
v_cmp_eq_u32 vcc, v2, 0xa                          // 
s_cbranch_vccnz label_0051                         // branch to shift d0 r1 mb10
v_cmp_eq_u32 vcc, v2, 0xb                          // 
s_cbranch_vccnz label_0053                         // branch to shift d0 r1 mb11
v_cmp_eq_u32 vcc, v2, 0xc                          // 
s_cbranch_vccnz label_0055                         // branch to shift d0 r1 mb12
v_cmp_eq_u32 vcc, v2, 0xd                          // 
s_cbranch_vccnz label_0057                         // branch to shift d0 r1 mb13
v_cmp_eq_u32 vcc, v2, 0xe                          // 
s_cbranch_vccnz label_0059                         // branch to shift d0 r1 mb14
v_cmp_eq_u32 vcc, v2, 0xf                          // 
s_cbranch_vccnz label_0061                         // branch to shift d0 r1 mb15
v_cmp_eq_u32 vcc, v2, 0x10                         // 
s_cbranch_vccnz label_0063                         // branch to shift d0 r1 mb16
v_cmp_eq_u32 vcc, v2, 0x11                         // 
s_cbranch_vccnz label_0065                         // branch to shift d0 r1 mb17
v_cmp_eq_u32 vcc, v2, 0x12                         // 
s_cbranch_vccnz label_0067                         // branch to shift d0 r1 mb18
v_cmp_eq_u32 vcc, v2, 0x13                         // 
s_cbranch_vccnz label_0069                         // branch to shift d0 r1 mb19

/******************************************/
/* shift d0 r=2                           */
/******************************************/
label_0071:
v_cmp_eq_u32 vcc, v2, 0x0                          // 
s_cbranch_vccnz label_0072                         // branch to shift d0 r2 mb0
v_cmp_eq_u32 vcc, v2, 0x1                          // 
s_cbranch_vccnz label_0074                         // branch to shift d0 r2 mb1
v_cmp_eq_u32 vcc, v2, 0x2                          // 
s_cbranch_vccnz label_0076                         // branch to shift d0 r2 mb2
v_cmp_eq_u32 vcc, v2, 0x3                          // 
s_cbranch_vccnz label_0078                         // branch to shift d0 r2 mb3
v_cmp_eq_u32 vcc, v2, 0x4                          // 
s_cbranch_vccnz label_0080                         // branch to shift d0 r2 mb4
v_cmp_eq_u32 vcc, v2, 0x5                          // 
s_cbranch_vccnz label_0082                         // branch to shift d0 r2 mb5
v_cmp_eq_u32 vcc, v2, 0x6                          // 
s_cbranch_vccnz label_0084                         // branch to shift d0 r2 mb6
v_cmp_eq_u32 vcc, v2, 0x7                          // 
s_cbranch_vccnz label_0086                         // branch to shift d0 r2 mb7
v_cmp_eq_u32 vcc, v2, 0x8                          // 
s_cbranch_vccnz label_0088                         // branch to shift d0 r2 mb8
v_cmp_eq_u32 vcc, v2, 0x9                          // 
s_cbranch_vccnz label_0090                         // branch to shift d0 r2 mb9
v_cmp_eq_u32 vcc, v2, 0xa                          // 
s_cbranch_vccnz label_0092                         // branch to shift d0 r2 mb10
v_cmp_eq_u32 vcc, v2, 0xb                          // 
s_cbranch_vccnz label_0094                         // branch to shift d0 r2 mb11
v_cmp_eq_u32 vcc, v2, 0xc                          // 
s_cbranch_vccnz label_0096                         // branch to shift d0 r2 mb12
v_cmp_eq_u32 vcc, v2, 0xd                          // 
s_cbranch_vccnz label_0098                         // branch to shift d0 r2 mb13
v_cmp_eq_u32 vcc, v2, 0xe                          // 
s_cbranch_vccnz label_0100                         // branch to shift d0 r2 mb14
v_cmp_eq_u32 vcc, v2, 0xf                          // 
s_cbranch_vccnz label_0102                         // branch to shift d0 r2 mb15
v_cmp_eq_u32 vcc, v2, 0x10                         // 
s_cbranch_vccnz label_0104                         // branch to shift d0 r2 mb16
v_cmp_eq_u32 vcc, v2, 0x11                         // 
s_cbranch_vccnz label_0106                         // branch to shift d0 r2 mb17
v_cmp_eq_u32 vcc, v2, 0x12                         // 
s_cbranch_vccnz label_0108                         // branch to shift d0 r2 mb18
v_cmp_eq_u32 vcc, v2, 0x13                         // 
s_cbranch_vccnz label_0110                         // branch to shift d0 r2 mb19

/******************************************/
/* shift d0 r=3                           */
/******************************************/
label_0112:
v_cmp_eq_u32 vcc, v2, 0x0                          // 
s_cbranch_vccnz label_0113                         // branch to shift d0 r3 mb0
v_cmp_eq_u32 vcc, v2, 0x1                          // 
s_cbranch_vccnz label_0115                         // branch to shift d0 r3 mb1
v_cmp_eq_u32 vcc, v2, 0x2                          // 
s_cbranch_vccnz label_0117                         // branch to shift d0 r3 mb2
v_cmp_eq_u32 vcc, v2, 0x3                          // 
s_cbranch_vccnz label_0119                         // branch to shift d0 r3 mb3
v_cmp_eq_u32 vcc, v2, 0x4                          // 
s_cbranch_vccnz label_0121                         // branch to shift d0 r3 mb4
v_cmp_eq_u32 vcc, v2, 0x5                          // 
s_cbranch_vccnz label_0123                         // branch to shift d0 r3 mb5
v_cmp_eq_u32 vcc, v2, 0x6                          // 
s_cbranch_vccnz label_0125                         // branch to shift d0 r3 mb6
v_cmp_eq_u32 vcc, v2, 0x7                          // 
s_cbranch_vccnz label_0127                         // branch to shift d0 r3 mb7
v_cmp_eq_u32 vcc, v2, 0x8                          // 
s_cbranch_vccnz label_0129                         // branch to shift d0 r3 mb8
v_cmp_eq_u32 vcc, v2, 0x9                          // 
s_cbranch_vccnz label_0131                         // branch to shift d0 r3 mb9
v_cmp_eq_u32 vcc, v2, 0xa                          // 
s_cbranch_vccnz label_0133                         // branch to shift d0 r3 mb10
v_cmp_eq_u32 vcc, v2, 0xb                          // 
s_cbranch_vccnz label_0135                         // branch to shift d0 r3 mb11
v_cmp_eq_u32 vcc, v2, 0xc                          // 
s_cbranch_vccnz label_0137                         // branch to shift d0 r3 mb12
v_cmp_eq_u32 vcc, v2, 0xd                          // 
s_cbranch_vccnz label_0139                         // branch to shift d0 r3 mb13
v_cmp_eq_u32 vcc, v2, 0xe                          // 
s_cbranch_vccnz label_0141                         // branch to shift d0 r3 mb14
v_cmp_eq_u32 vcc, v2, 0xf                          // 
s_cbranch_vccnz label_0143                         // branch to shift d0 r3 mb15
v_cmp_eq_u32 vcc, v2, 0x10                         // 
s_cbranch_vccnz label_0145                         // branch to shift d0 r3 mb16
v_cmp_eq_u32 vcc, v2, 0x11                         // 
s_cbranch_vccnz label_0147                         // branch to shift d0 r3 mb17
v_cmp_eq_u32 vcc, v2, 0x12                         // 
s_cbranch_vccnz label_0149                         // branch to shift d0 r3 mb18
v_cmp_eq_u32 vcc, v2, 0x13                         // 
s_cbranch_vccnz label_0151                         // branch to shift d0 r3 mb19

/******************************************/
/* shift d0 r=1 mb=0                      */
/******************************************/
label_0031: // r1 mb0 
v_cmp_eq_u32 vcc, v3, 0x0                          // 
s_cbranch_vccnz label_0032                         // branch to shift d0 r1 mb0 vw0

/******************************************/
/* shift d0 r=1 mb=1                      */
/******************************************/
label_0033: // r1 mb1 
v_cmp_eq_u32 vcc, v3, 0x0                          // 
s_cbranch_vccnz label_0034                         // branch to shift d0 r1 mb1 vw0

/******************************************/
/* shift d0 r=1 mb=2                      */
/******************************************/
label_0035: // r1 mb2 
v_cmp_eq_u32 vcc, v3, 0x0                          // 
s_cbranch_vccnz label_0036                         // branch to shift d0 r1 mb2 vw0

/******************************************/
/* shift d0 r=1 mb=3                      */
/******************************************/
label_0037: // r1 mb3 
v_cmp_eq_u32 vcc, v3, 0x0                          // 
s_cbranch_vccnz label_0038                         // branch to shift d0 r1 mb3 vw0

/******************************************/
/* shift d0 r=1 mb=4                      */
/******************************************/
label_0039: // r1 mb4 
v_cmp_eq_u32 vcc, v3, 0x0                          // 
s_cbranch_vccnz label_0040                         // branch to shift d0 r1 mb4 vw0

/******************************************/
/* shift d0 r=1 mb=5                      */
/******************************************/
label_0041: // r1 mb5 
v_cmp_eq_u32 vcc, v3, 0x0                          // 
s_cbranch_vccnz label_0042                         // branch to shift d0 r1 mb5 vw0

/******************************************/
/* shift d0 r=1 mb=6                      */
/******************************************/
label_0043: // r1 mb6 
v_cmp_eq_u32 vcc, v3, 0x0                          // 
s_cbranch_vccnz label_0044                         // branch to shift d0 r1 mb6 vw0

/******************************************/
/* shift d0 r=1 mb=7                      */
/******************************************/
label_0045: // r1 mb7 
v_cmp_eq_u32 vcc, v3, 0x0                          // 
s_cbranch_vccnz label_0046                         // branch to shift d0 r1 mb7 vw0

/******************************************/
/* shift d0 r=1 mb=8                      */
/******************************************/
label_0047: // r1 mb8 
v_cmp_eq_u32 vcc, v3, 0x0                          // 
s_cbranch_vccnz label_0048                         // branch to shift d0 r1 mb8 vw0

/******************************************/
/* shift d0 r=1 mb=9                      */
/******************************************/
label_0049: // r1 mb9 
v_cmp_eq_u32 vcc, v3, 0x0                          // 
s_cbranch_vccnz label_0050                         // branch to shift d0 r1 mb9 vw0

/******************************************/
/* shift d0 r=1 mb=10                     */
/******************************************/
label_0051: // r1 mb10 
v_cmp_eq_u32 vcc, v3, 0x0                          // 
s_cbranch_vccnz label_0052                         // branch to shift d0 r1 mb10 vw0

/******************************************/
/* shift d0 r=1 mb=11                     */
/******************************************/
label_0053: // r1 mb11 
v_cmp_eq_u32 vcc, v3, 0x0                          // 
s_cbranch_vccnz label_0054                         // branch to shift d0 r1 mb11 vw0

/******************************************/
/* shift d0 r=1 mb=12                     */
/******************************************/
label_0055: // r1 mb12 
v_cmp_eq_u32 vcc, v3, 0x0                          // 
s_cbranch_vccnz label_0056                         // branch to shift d0 r1 mb12 vw0

/******************************************/
/* shift d0 r=1 mb=13                     */
/******************************************/
label_0057: // r1 mb13 
v_cmp_eq_u32 vcc, v3, 0x0                          // 
s_cbranch_vccnz label_0058                         // branch to shift d0 r1 mb13 vw0

/******************************************/
/* shift d0 r=1 mb=14                     */
/******************************************/
label_0059: // r1 mb14 
v_cmp_eq_u32 vcc, v3, 0x0                          // 
s_cbranch_vccnz label_0060                         // branch to shift d0 r1 mb14 vw0

/******************************************/
/* shift d0 r=1 mb=15                     */
/******************************************/
label_0061: // r1 mb15 
v_cmp_eq_u32 vcc, v3, 0x0                          // 
s_cbranch_vccnz label_0062                         // branch to shift d0 r1 mb15 vw0

/******************************************/
/* shift d0 r=1 mb=16                     */
/******************************************/
label_0063: // r1 mb16 
v_cmp_eq_u32 vcc, v3, 0x0                          // 
s_cbranch_vccnz label_0064                         // branch to shift d0 r1 mb16 vw0

/******************************************/
/* shift d0 r=1 mb=17                     */
/******************************************/
label_0065: // r1 mb17 
v_cmp_eq_u32 vcc, v3, 0x0                          // 
s_cbranch_vccnz label_0066                         // branch to shift d0 r1 mb17 vw0

/******************************************/
/* shift d0 r=1 mb=18                     */
/******************************************/
label_0067: // r1 mb18 
v_cmp_eq_u32 vcc, v3, 0x0                          // 
s_cbranch_vccnz label_0068                         // branch to shift d0 r1 mb18 vw0

/******************************************/
/* shift d0 r=1 mb=19                     */
/******************************************/
label_0069: // r1 mb19 
v_cmp_eq_u32 vcc, v3, 0x0                          // 
s_cbranch_vccnz label_0070                         // branch to shift d0 r1 mb19 vw0

/******************************************/
/* shift d0 r=2 mb=0                      */
/******************************************/
label_0072: // r2 mb0 
v_cmp_eq_u32 vcc, v3, 0x0                          // 
s_cbranch_vccnz label_0073                         // branch to shift d0 r2 mb0 vw0

/******************************************/
/* shift d0 r=2 mb=1                      */
/******************************************/
label_0074: // r2 mb1 
v_cmp_eq_u32 vcc, v3, 0x0                          // 
s_cbranch_vccnz label_0075                         // branch to shift d0 r2 mb1 vw0

/******************************************/
/* shift d0 r=2 mb=2                      */
/******************************************/
label_0076: // r2 mb2 
v_cmp_eq_u32 vcc, v3, 0x0                          // 
s_cbranch_vccnz label_0077                         // branch to shift d0 r2 mb2 vw0

/******************************************/
/* shift d0 r=2 mb=3                      */
/******************************************/
label_0078: // r2 mb3 
v_cmp_eq_u32 vcc, v3, 0x0                          // 
s_cbranch_vccnz label_0079                         // branch to shift d0 r2 mb3 vw0

/******************************************/
/* shift d0 r=2 mb=4                      */
/******************************************/
label_0080: // r2 mb4 
v_cmp_eq_u32 vcc, v3, 0x0                          // 
s_cbranch_vccnz label_0081                         // branch to shift d0 r2 mb4 vw0

/******************************************/
/* shift d0 r=2 mb=5                      */
/******************************************/
label_0082: // r2 mb5 
v_cmp_eq_u32 vcc, v3, 0x0                          // 
s_cbranch_vccnz label_0083                         // branch to shift d0 r2 mb5 vw0

/******************************************/
/* shift d0 r=2 mb=6                      */
/******************************************/
label_0084: // r2 mb6 
v_cmp_eq_u32 vcc, v3, 0x0                          // 
s_cbranch_vccnz label_0085                         // branch to shift d0 r2 mb6 vw0

/******************************************/
/* shift d0 r=2 mb=7                      */
/******************************************/
label_0086: // r2 mb7 
v_cmp_eq_u32 vcc, v3, 0x0                          // 
s_cbranch_vccnz label_0087                         // branch to shift d0 r2 mb7 vw0

/******************************************/
/* shift d0 r=2 mb=8                      */
/******************************************/
label_0088: // r2 mb8 
v_cmp_eq_u32 vcc, v3, 0x0                          // 
s_cbranch_vccnz label_0089                         // branch to shift d0 r2 mb8 vw0

/******************************************/
/* shift d0 r=2 mb=9                      */
/******************************************/
label_0090: // r2 mb9 
v_cmp_eq_u32 vcc, v3, 0x0                          // 
s_cbranch_vccnz label_0091                         // branch to shift d0 r2 mb9 vw0

/******************************************/
/* shift d0 r=2 mb=10                     */
/******************************************/
label_0092: // r2 mb10 
v_cmp_eq_u32 vcc, v3, 0x0                          // 
s_cbranch_vccnz label_0093                         // branch to shift d0 r2 mb10 vw0

/******************************************/
/* shift d0 r=2 mb=11                     */
/******************************************/
label_0094: // r2 mb11 
v_cmp_eq_u32 vcc, v3, 0x0                          // 
s_cbranch_vccnz label_0095                         // branch to shift d0 r2 mb11 vw0

/******************************************/
/* shift d0 r=2 mb=12                     */
/******************************************/
label_0096: // r2 mb12 
v_cmp_eq_u32 vcc, v3, 0x0                          // 
s_cbranch_vccnz label_0097                         // branch to shift d0 r2 mb12 vw0

/******************************************/
/* shift d0 r=2 mb=13                     */
/******************************************/
label_0098: // r2 mb13 
v_cmp_eq_u32 vcc, v3, 0x0                          // 
s_cbranch_vccnz label_0099                         // branch to shift d0 r2 mb13 vw0

/******************************************/
/* shift d0 r=2 mb=14                     */
/******************************************/
label_0100: // r2 mb14 
v_cmp_eq_u32 vcc, v3, 0x0                          // 
s_cbranch_vccnz label_0101                         // branch to shift d0 r2 mb14 vw0

/******************************************/
/* shift d0 r=2 mb=15                     */
/******************************************/
label_0102: // r2 mb15 
v_cmp_eq_u32 vcc, v3, 0x0                          // 
s_cbranch_vccnz label_0103                         // branch to shift d0 r2 mb15 vw0

/******************************************/
/* shift d0 r=2 mb=16                     */
/******************************************/
label_0104: // r2 mb16 
v_cmp_eq_u32 vcc, v3, 0x0                          // 
s_cbranch_vccnz label_0105                         // branch to shift d0 r2 mb16 vw0

/******************************************/
/* shift d0 r=2 mb=17                     */
/******************************************/
label_0106: // r2 mb17 
v_cmp_eq_u32 vcc, v3, 0x0                          // 
s_cbranch_vccnz label_0107                         // branch to shift d0 r2 mb17 vw0

/******************************************/
/* shift d0 r=2 mb=18                     */
/******************************************/
label_0108: // r2 mb18 
v_cmp_eq_u32 vcc, v3, 0x0                          // 
s_cbranch_vccnz label_0109                         // branch to shift d0 r2 mb18 vw0

/******************************************/
/* shift d0 r=2 mb=19                     */
/******************************************/
label_0110: // r2 mb19 
v_cmp_eq_u32 vcc, v3, 0x0                          // 
s_cbranch_vccnz label_0111                         // branch to shift d0 r2 mb19 vw0

/******************************************/
/* shift d0 r=3 mb=0                      */
/******************************************/
label_0113: // r3 mb0 
v_cmp_eq_u32 vcc, v3, 0x0                          // 
s_cbranch_vccnz label_0114                         // branch to shift d0 r3 mb0 vw0

/******************************************/
/* shift d0 r=3 mb=1                      */
/******************************************/
label_0115: // r3 mb1 
v_cmp_eq_u32 vcc, v3, 0x0                          // 
s_cbranch_vccnz label_0116                         // branch to shift d0 r3 mb1 vw0

/******************************************/
/* shift d0 r=3 mb=2                      */
/******************************************/
label_0117: // r3 mb2 
v_cmp_eq_u32 vcc, v3, 0x0                          // 
s_cbranch_vccnz label_0118                         // branch to shift d0 r3 mb2 vw0

/******************************************/
/* shift d0 r=3 mb=3                      */
/******************************************/
label_0119: // r3 mb3 
v_cmp_eq_u32 vcc, v3, 0x0                          // 
s_cbranch_vccnz label_0120                         // branch to shift d0 r3 mb3 vw0

/******************************************/
/* shift d0 r=3 mb=4                      */
/******************************************/
label_0121: // r3 mb4 
v_cmp_eq_u32 vcc, v3, 0x0                          // 
s_cbranch_vccnz label_0122                         // branch to shift d0 r3 mb4 vw0

/******************************************/
/* shift d0 r=3 mb=5                      */
/******************************************/
label_0123: // r3 mb5 
v_cmp_eq_u32 vcc, v3, 0x0                          // 
s_cbranch_vccnz label_0124                         // branch to shift d0 r3 mb5 vw0

/******************************************/
/* shift d0 r=3 mb=6                      */
/******************************************/
label_0125: // r3 mb6 
v_cmp_eq_u32 vcc, v3, 0x0                          // 
s_cbranch_vccnz label_0126                         // branch to shift d0 r3 mb6 vw0

/******************************************/
/* shift d0 r=3 mb=7                      */
/******************************************/
label_0127: // r3 mb7 
v_cmp_eq_u32 vcc, v3, 0x0                          // 
s_cbranch_vccnz label_0128                         // branch to shift d0 r3 mb7 vw0

/******************************************/
/* shift d0 r=3 mb=8                      */
/******************************************/
label_0129: // r3 mb8 
v_cmp_eq_u32 vcc, v3, 0x0                          // 
s_cbranch_vccnz label_0130                         // branch to shift d0 r3 mb8 vw0

/******************************************/
/* shift d0 r=3 mb=9                      */
/******************************************/
label_0131: // r3 mb9 
v_cmp_eq_u32 vcc, v3, 0x0                          // 
s_cbranch_vccnz label_0132                         // branch to shift d0 r3 mb9 vw0

/******************************************/
/* shift d0 r=3 mb=10                     */
/******************************************/
label_0133: // r3 mb10 
v_cmp_eq_u32 vcc, v3, 0x0                          // 
s_cbranch_vccnz label_0134                         // branch to shift d0 r3 mb10 vw0

/******************************************/
/* shift d0 r=3 mb=11                     */
/******************************************/
label_0135: // r3 mb11 
v_cmp_eq_u32 vcc, v3, 0x0                          // 
s_cbranch_vccnz label_0136                         // branch to shift d0 r3 mb11 vw0

/******************************************/
/* shift d0 r=3 mb=12                     */
/******************************************/
label_0137: // r3 mb12 
v_cmp_eq_u32 vcc, v3, 0x0                          // 
s_cbranch_vccnz label_0138                         // branch to shift d0 r3 mb12 vw0

/******************************************/
/* shift d0 r=3 mb=13                     */
/******************************************/
label_0139: // r3 mb13 
v_cmp_eq_u32 vcc, v3, 0x0                          // 
s_cbranch_vccnz label_0140                         // branch to shift d0 r3 mb13 vw0

/******************************************/
/* shift d0 r=3 mb=14                     */
/******************************************/
label_0141: // r3 mb14 
v_cmp_eq_u32 vcc, v3, 0x0                          // 
s_cbranch_vccnz label_0142                         // branch to shift d0 r3 mb14 vw0

/******************************************/
/* shift d0 r=3 mb=15                     */
/******************************************/
label_0143: // r3 mb15 
v_cmp_eq_u32 vcc, v3, 0x0                          // 
s_cbranch_vccnz label_0144                         // branch to shift d0 r3 mb15 vw0

/******************************************/
/* shift d0 r=3 mb=16                     */
/******************************************/
label_0145: // r3 mb16 
v_cmp_eq_u32 vcc, v3, 0x0                          // 
s_cbranch_vccnz label_0146                         // branch to shift d0 r3 mb16 vw0

/******************************************/
/* shift d0 r=3 mb=17                     */
/******************************************/
label_0147: // r3 mb17 
v_cmp_eq_u32 vcc, v3, 0x0                          // 
s_cbranch_vccnz label_0148                         // branch to shift d0 r3 mb17 vw0

/******************************************/
/* shift d0 r=3 mb=18                     */
/******************************************/
label_0149: // r3 mb18 
v_cmp_eq_u32 vcc, v3, 0x0                          // 
s_cbranch_vccnz label_0150                         // branch to shift d0 r3 mb18 vw0

/******************************************/
/* shift d0 r=3 mb=19                     */
/******************************************/
label_0151: // r3 mb19 
v_cmp_eq_u32 vcc, v3, 0x0                          // 
s_cbranch_vccnz label_0152                         // branch to shift d0 r3 mb19 vw0

/******************************************/
/* shift d0 r=1 mb=0 vw0                  */
/******************************************/
label_0032: // r1 mb0 vw0 
s_mov_b32 s32, 0                                   // 
_v_cmpx_eq_u32 s[32:33], v4, s32                   // is thread in edge glvw region
v_and_b32 v0, 63, v[vgprSerial]                    // permute register between threads
v_lshlrev_b32 v0, 2, v0                            // permute register between threads
v_accvgpr_read_b32 v5, acc3                        // glvw 1 mb 0 tt1 0 r 0
s_nop 1                                            // v_accvgpr read vgpr after write vgpr: 2 wait states
v_accvgpr_write_b32 acc0, v5                       // 
s_mov_b64 s[32:33], 0xFFFFFFFFFFFFFFFF             // to restore all threads active
s_or_saveexec_b64 vcc, s[32:33]                    // all threads active
s_branch label_0153                                // done shifting


/******************************************/
/* shift d0 r=1 mb=1 vw0                  */
/******************************************/
label_0034: // r1 mb1 vw0 
s_mov_b32 s32, 2                                   // 
_v_cmpx_eq_u32 s[32:33], v4, s32                   // is thread in edge glvw region
v_and_b32 v0, 63, v[vgprSerial]                    // permute register between threads
v_lshlrev_b32 v0, 2, v0                            // permute register between threads
v_accvgpr_read_b32 v5, acc7                        // glvw 1 mb 1 tt1 0 r 0
s_nop 1                                            // v_accvgpr read vgpr after write vgpr: 2 wait states
v_accvgpr_write_b32 acc4, v5                       // 
s_mov_b64 s[32:33], 0xFFFFFFFFFFFFFFFF             // to restore all threads active
s_or_saveexec_b64 vcc, s[32:33]                    // all threads active
s_branch label_0153                                // done shifting


/******************************************/
/* shift d0 r=1 mb=2 vw0                  */
/******************************************/
label_0036: // r1 mb2 vw0 
s_mov_b32 s32, 4                                   // 
_v_cmpx_eq_u32 s[32:33], v4, s32                   // is thread in edge glvw region
v_and_b32 v0, 63, v[vgprSerial]                    // permute register between threads
v_lshlrev_b32 v0, 2, v0                            // permute register between threads
v_accvgpr_read_b32 v5, acc11                       // glvw 1 mb 2 tt1 0 r 0
s_nop 1                                            // v_accvgpr read vgpr after write vgpr: 2 wait states
v_accvgpr_write_b32 acc8, v5                       // 
s_mov_b64 s[32:33], 0xFFFFFFFFFFFFFFFF             // to restore all threads active
s_or_saveexec_b64 vcc, s[32:33]                    // all threads active
s_branch label_0153                                // done shifting


/******************************************/
/* shift d0 r=1 mb=3 vw0                  */
/******************************************/
label_0038: // r1 mb3 vw0 
s_mov_b32 s32, 6                                   // 
_v_cmpx_eq_u32 s[32:33], v4, s32                   // is thread in edge glvw region
v_and_b32 v0, 63, v[vgprSerial]                    // permute register between threads
v_lshlrev_b32 v0, 2, v0                            // permute register between threads
v_accvgpr_read_b32 v5, acc15                       // glvw 1 mb 3 tt1 0 r 0
s_nop 1                                            // v_accvgpr read vgpr after write vgpr: 2 wait states
v_accvgpr_write_b32 acc12, v5                      // 
s_mov_b64 s[32:33], 0xFFFFFFFFFFFFFFFF             // to restore all threads active
s_or_saveexec_b64 vcc, s[32:33]                    // all threads active
s_branch label_0153                                // done shifting


/******************************************/
/* shift d0 r=1 mb=4 vw0                  */
/******************************************/
label_0040: // r1 mb4 vw0 
s_mov_b32 s32, 8                                   // 
_v_cmpx_eq_u32 s[32:33], v4, s32                   // is thread in edge glvw region
v_and_b32 v0, 63, v[vgprSerial]                    // permute register between threads
v_lshlrev_b32 v0, 2, v0                            // permute register between threads
v_accvgpr_read_b32 v5, acc19                       // glvw 1 mb 4 tt1 0 r 0
s_nop 1                                            // v_accvgpr read vgpr after write vgpr: 2 wait states
v_accvgpr_write_b32 acc16, v5                      // 
s_mov_b64 s[32:33], 0xFFFFFFFFFFFFFFFF             // to restore all threads active
s_or_saveexec_b64 vcc, s[32:33]                    // all threads active
s_branch label_0153                                // done shifting


/******************************************/
/* shift d0 r=1 mb=5 vw0                  */
/******************************************/
label_0042: // r1 mb5 vw0 
s_mov_b32 s32, 10                                  // 
_v_cmpx_eq_u32 s[32:33], v4, s32                   // is thread in edge glvw region
v_and_b32 v0, 63, v[vgprSerial]                    // permute register between threads
v_lshlrev_b32 v0, 2, v0                            // permute register between threads
v_accvgpr_read_b32 v5, acc23                       // glvw 1 mb 5 tt1 0 r 0
s_nop 1                                            // v_accvgpr read vgpr after write vgpr: 2 wait states
v_accvgpr_write_b32 acc20, v5                      // 
s_mov_b64 s[32:33], 0xFFFFFFFFFFFFFFFF             // to restore all threads active
s_or_saveexec_b64 vcc, s[32:33]                    // all threads active
s_branch label_0153                                // done shifting


/******************************************/
/* shift d0 r=1 mb=6 vw0                  */
/******************************************/
label_0044: // r1 mb6 vw0 
s_mov_b32 s32, 12                                  // 
_v_cmpx_eq_u32 s[32:33], v4, s32                   // is thread in edge glvw region
v_and_b32 v0, 63, v[vgprSerial]                    // permute register between threads
v_lshlrev_b32 v0, 2, v0                            // permute register between threads
v_accvgpr_read_b32 v5, acc27                       // glvw 1 mb 6 tt1 0 r 0
s_nop 1                                            // v_accvgpr read vgpr after write vgpr: 2 wait states
v_accvgpr_write_b32 acc24, v5                      // 
s_mov_b64 s[32:33], 0xFFFFFFFFFFFFFFFF             // to restore all threads active
s_or_saveexec_b64 vcc, s[32:33]                    // all threads active
s_branch label_0153                                // done shifting


/******************************************/
/* shift d0 r=1 mb=7 vw0                  */
/******************************************/
label_0046: // r1 mb7 vw0 
s_mov_b32 s32, 14                                  // 
_v_cmpx_eq_u32 s[32:33], v4, s32                   // is thread in edge glvw region
v_and_b32 v0, 63, v[vgprSerial]                    // permute register between threads
v_lshlrev_b32 v0, 2, v0                            // permute register between threads
v_accvgpr_read_b32 v5, acc31                       // glvw 1 mb 7 tt1 0 r 0
s_nop 1                                            // v_accvgpr read vgpr after write vgpr: 2 wait states
v_accvgpr_write_b32 acc28, v5                      // 
s_mov_b64 s[32:33], 0xFFFFFFFFFFFFFFFF             // to restore all threads active
s_or_saveexec_b64 vcc, s[32:33]                    // all threads active
s_branch label_0153                                // done shifting


/******************************************/
/* shift d0 r=1 mb=8 vw0                  */
/******************************************/
label_0048: // r1 mb8 vw0 
s_mov_b32 s32, 16                                  // 
_v_cmpx_eq_u32 s[32:33], v4, s32                   // is thread in edge glvw region
v_and_b32 v0, 63, v[vgprSerial]                    // permute register between threads
v_lshlrev_b32 v0, 2, v0                            // permute register between threads
v_accvgpr_read_b32 v5, acc35                       // glvw 1 mb 8 tt1 0 r 0
s_nop 1                                            // v_accvgpr read vgpr after write vgpr: 2 wait states
v_accvgpr_write_b32 acc32, v5                      // 
s_mov_b64 s[32:33], 0xFFFFFFFFFFFFFFFF             // to restore all threads active
s_or_saveexec_b64 vcc, s[32:33]                    // all threads active
s_branch label_0153                                // done shifting


/******************************************/
/* shift d0 r=1 mb=9 vw0                  */
/******************************************/
label_0050: // r1 mb9 vw0 
s_mov_b32 s32, 18                                  // 
_v_cmpx_eq_u32 s[32:33], v4, s32                   // is thread in edge glvw region
v_and_b32 v0, 63, v[vgprSerial]                    // permute register between threads
v_lshlrev_b32 v0, 2, v0                            // permute register between threads
v_accvgpr_read_b32 v5, acc39                       // glvw 1 mb 9 tt1 0 r 0
s_nop 1                                            // v_accvgpr read vgpr after write vgpr: 2 wait states
v_accvgpr_write_b32 acc36, v5                      // 
s_mov_b64 s[32:33], 0xFFFFFFFFFFFFFFFF             // to restore all threads active
s_or_saveexec_b64 vcc, s[32:33]                    // all threads active
s_branch label_0153                                // done shifting


/******************************************/
/* shift d0 r=1 mb=10 vw0                 */
/******************************************/
label_0052: // r1 mb10 vw0 
s_mov_b32 s32, 20                                  // 
_v_cmpx_eq_u32 s[32:33], v4, s32                   // is thread in edge glvw region
v_and_b32 v0, 63, v[vgprSerial]                    // permute register between threads
v_lshlrev_b32 v0, 2, v0                            // permute register between threads
v_accvgpr_read_b32 v5, acc43                       // glvw 1 mb 10 tt1 0 r 0
s_nop 1                                            // v_accvgpr read vgpr after write vgpr: 2 wait states
v_accvgpr_write_b32 acc40, v5                      // 
s_mov_b64 s[32:33], 0xFFFFFFFFFFFFFFFF             // to restore all threads active
s_or_saveexec_b64 vcc, s[32:33]                    // all threads active
s_branch label_0153                                // done shifting


/******************************************/
/* shift d0 r=1 mb=11 vw0                 */
/******************************************/
label_0054: // r1 mb11 vw0 
s_mov_b32 s32, 22                                  // 
_v_cmpx_eq_u32 s[32:33], v4, s32                   // is thread in edge glvw region
v_and_b32 v0, 63, v[vgprSerial]                    // permute register between threads
v_lshlrev_b32 v0, 2, v0                            // permute register between threads
v_accvgpr_read_b32 v5, acc47                       // glvw 1 mb 11 tt1 0 r 0
s_nop 1                                            // v_accvgpr read vgpr after write vgpr: 2 wait states
v_accvgpr_write_b32 acc44, v5                      // 
s_mov_b64 s[32:33], 0xFFFFFFFFFFFFFFFF             // to restore all threads active
s_or_saveexec_b64 vcc, s[32:33]                    // all threads active
s_branch label_0153                                // done shifting


/******************************************/
/* shift d0 r=1 mb=12 vw0                 */
/******************************************/
label_0056: // r1 mb12 vw0 
s_mov_b32 s32, 24                                  // 
_v_cmpx_eq_u32 s[32:33], v4, s32                   // is thread in edge glvw region
v_and_b32 v0, 63, v[vgprSerial]                    // permute register between threads
v_lshlrev_b32 v0, 2, v0                            // permute register between threads
v_accvgpr_read_b32 v5, acc51                       // glvw 1 mb 12 tt1 0 r 0
s_nop 1                                            // v_accvgpr read vgpr after write vgpr: 2 wait states
v_accvgpr_write_b32 acc48, v5                      // 
s_mov_b64 s[32:33], 0xFFFFFFFFFFFFFFFF             // to restore all threads active
s_or_saveexec_b64 vcc, s[32:33]                    // all threads active
s_branch label_0153                                // done shifting


/******************************************/
/* shift d0 r=1 mb=13 vw0                 */
/******************************************/
label_0058: // r1 mb13 vw0 
s_mov_b32 s32, 26                                  // 
_v_cmpx_eq_u32 s[32:33], v4, s32                   // is thread in edge glvw region
v_and_b32 v0, 63, v[vgprSerial]                    // permute register between threads
v_lshlrev_b32 v0, 2, v0                            // permute register between threads
v_accvgpr_read_b32 v5, acc55                       // glvw 1 mb 13 tt1 0 r 0
s_nop 1                                            // v_accvgpr read vgpr after write vgpr: 2 wait states
v_accvgpr_write_b32 acc52, v5                      // 
s_mov_b64 s[32:33], 0xFFFFFFFFFFFFFFFF             // to restore all threads active
s_or_saveexec_b64 vcc, s[32:33]                    // all threads active
s_branch label_0153                                // done shifting


/******************************************/
/* shift d0 r=1 mb=14 vw0                 */
/******************************************/
label_0060: // r1 mb14 vw0 
s_mov_b32 s32, 28                                  // 
_v_cmpx_eq_u32 s[32:33], v4, s32                   // is thread in edge glvw region
v_and_b32 v0, 63, v[vgprSerial]                    // permute register between threads
v_lshlrev_b32 v0, 2, v0                            // permute register between threads
v_accvgpr_read_b32 v5, acc59                       // glvw 1 mb 14 tt1 0 r 0
s_nop 1                                            // v_accvgpr read vgpr after write vgpr: 2 wait states
v_accvgpr_write_b32 acc56, v5                      // 
s_mov_b64 s[32:33], 0xFFFFFFFFFFFFFFFF             // to restore all threads active
s_or_saveexec_b64 vcc, s[32:33]                    // all threads active
s_branch label_0153                                // done shifting


/******************************************/
/* shift d0 r=1 mb=15 vw0                 */
/******************************************/
label_0062: // r1 mb15 vw0 
s_mov_b32 s32, 30                                  // 
_v_cmpx_eq_u32 s[32:33], v4, s32                   // is thread in edge glvw region
v_and_b32 v0, 63, v[vgprSerial]                    // permute register between threads
v_lshlrev_b32 v0, 2, v0                            // permute register between threads
v_accvgpr_read_b32 v5, acc63                       // glvw 1 mb 15 tt1 0 r 0
s_nop 1                                            // v_accvgpr read vgpr after write vgpr: 2 wait states
v_accvgpr_write_b32 acc60, v5                      // 
s_mov_b64 s[32:33], 0xFFFFFFFFFFFFFFFF             // to restore all threads active
s_or_saveexec_b64 vcc, s[32:33]                    // all threads active
s_branch label_0153                                // done shifting


/******************************************/
/* shift d0 r=1 mb=16 vw0                 */
/******************************************/
label_0064: // r1 mb16 vw0 
s_mov_b32 s32, 32                                  // 
_v_cmpx_eq_u32 s[32:33], v4, s32                   // is thread in edge glvw region
v_and_b32 v0, 63, v[vgprSerial]                    // permute register between threads
v_lshlrev_b32 v0, 2, v0                            // permute register between threads
v_accvgpr_read_b32 v5, acc67                       // glvw 1 mb 16 tt1 0 r 0
s_nop 1                                            // v_accvgpr read vgpr after write vgpr: 2 wait states
v_accvgpr_write_b32 acc64, v5                      // 
s_mov_b64 s[32:33], 0xFFFFFFFFFFFFFFFF             // to restore all threads active
s_or_saveexec_b64 vcc, s[32:33]                    // all threads active
s_branch label_0153                                // done shifting


/******************************************/
/* shift d0 r=1 mb=17 vw0                 */
/******************************************/
label_0066: // r1 mb17 vw0 
s_mov_b32 s32, 34                                  // 
_v_cmpx_eq_u32 s[32:33], v4, s32                   // is thread in edge glvw region
v_and_b32 v0, 63, v[vgprSerial]                    // permute register between threads
v_lshlrev_b32 v0, 2, v0                            // permute register between threads
v_accvgpr_read_b32 v5, acc71                       // glvw 1 mb 17 tt1 0 r 0
s_nop 1                                            // v_accvgpr read vgpr after write vgpr: 2 wait states
v_accvgpr_write_b32 acc68, v5                      // 
s_mov_b64 s[32:33], 0xFFFFFFFFFFFFFFFF             // to restore all threads active
s_or_saveexec_b64 vcc, s[32:33]                    // all threads active
s_branch label_0153                                // done shifting


/******************************************/
/* shift d0 r=1 mb=18 vw0                 */
/******************************************/
label_0068: // r1 mb18 vw0 
s_mov_b32 s32, 36                                  // 
_v_cmpx_eq_u32 s[32:33], v4, s32                   // is thread in edge glvw region
v_and_b32 v0, 63, v[vgprSerial]                    // permute register between threads
v_lshlrev_b32 v0, 2, v0                            // permute register between threads
v_accvgpr_read_b32 v5, acc75                       // glvw 1 mb 18 tt1 0 r 0
s_nop 1                                            // v_accvgpr read vgpr after write vgpr: 2 wait states
v_accvgpr_write_b32 acc72, v5                      // 
s_mov_b64 s[32:33], 0xFFFFFFFFFFFFFFFF             // to restore all threads active
s_or_saveexec_b64 vcc, s[32:33]                    // all threads active
s_branch label_0153                                // done shifting


/******************************************/
/* shift d0 r=1 mb=19 vw0                 */
/******************************************/
label_0070: // r1 mb19 vw0 
s_mov_b32 s32, 38                                  // 
_v_cmpx_eq_u32 s[32:33], v4, s32                   // is thread in edge glvw region
v_and_b32 v0, 63, v[vgprSerial]                    // permute register between threads
v_lshlrev_b32 v0, 2, v0                            // permute register between threads
v_accvgpr_read_b32 v5, acc79                       // glvw 1 mb 19 tt1 0 r 0
s_nop 1                                            // v_accvgpr read vgpr after write vgpr: 2 wait states
v_accvgpr_write_b32 acc76, v5                      // 
s_mov_b64 s[32:33], 0xFFFFFFFFFFFFFFFF             // to restore all threads active
s_or_saveexec_b64 vcc, s[32:33]                    // all threads active
s_branch label_0153                                // done shifting


/******************************************/
/* shift d0 r=2 mb=0 vw0                  */
/******************************************/
label_0073: // r2 mb0 vw0 
s_mov_b32 s32, 0                                   // 
_v_cmpx_eq_u32 s[32:33], v4, s32                   // is thread in edge glvw region
v_and_b32 v0, 63, v[vgprSerial]                    // permute register between threads
v_lshlrev_b32 v0, 2, v0                            // permute register between threads
v_accvgpr_read_b32 v5, acc2                        // glvw 2 mb 0 tt1 0 r 0
v_accvgpr_read_b32 v6, acc3                        // glvw 2 mb 0 tt1 0 r 0
s_nop 1                                            // v_accvgpr read vgpr after write vgpr: 2 wait states
v_accvgpr_write_b32 acc0, v5                       // 
v_accvgpr_write_b32 acc1, v6                       // 
s_mov_b64 s[32:33], 0xFFFFFFFFFFFFFFFF             // to restore all threads active
s_or_saveexec_b64 vcc, s[32:33]                    // all threads active
s_branch label_0153                                // done shifting


/******************************************/
/* shift d0 r=2 mb=1 vw0                  */
/******************************************/
label_0075: // r2 mb1 vw0 
s_mov_b32 s32, 2                                   // 
_v_cmpx_eq_u32 s[32:33], v4, s32                   // is thread in edge glvw region
v_and_b32 v0, 63, v[vgprSerial]                    // permute register between threads
v_lshlrev_b32 v0, 2, v0                            // permute register between threads
v_accvgpr_read_b32 v5, acc6                        // glvw 2 mb 1 tt1 0 r 0
v_accvgpr_read_b32 v6, acc7                        // glvw 2 mb 1 tt1 0 r 0
s_nop 1                                            // v_accvgpr read vgpr after write vgpr: 2 wait states
v_accvgpr_write_b32 acc4, v5                       // 
v_accvgpr_write_b32 acc5, v6                       // 
s_mov_b64 s[32:33], 0xFFFFFFFFFFFFFFFF             // to restore all threads active
s_or_saveexec_b64 vcc, s[32:33]                    // all threads active
s_branch label_0153                                // done shifting


/******************************************/
/* shift d0 r=2 mb=2 vw0                  */
/******************************************/
label_0077: // r2 mb2 vw0 
s_mov_b32 s32, 4                                   // 
_v_cmpx_eq_u32 s[32:33], v4, s32                   // is thread in edge glvw region
v_and_b32 v0, 63, v[vgprSerial]                    // permute register between threads
v_lshlrev_b32 v0, 2, v0                            // permute register between threads
v_accvgpr_read_b32 v5, acc10                       // glvw 2 mb 2 tt1 0 r 0
v_accvgpr_read_b32 v6, acc11                       // glvw 2 mb 2 tt1 0 r 0
s_nop 1                                            // v_accvgpr read vgpr after write vgpr: 2 wait states
v_accvgpr_write_b32 acc8, v5                       // 
v_accvgpr_write_b32 acc9, v6                       // 
s_mov_b64 s[32:33], 0xFFFFFFFFFFFFFFFF             // to restore all threads active
s_or_saveexec_b64 vcc, s[32:33]                    // all threads active
s_branch label_0153                                // done shifting


/******************************************/
/* shift d0 r=2 mb=3 vw0                  */
/******************************************/
label_0079: // r2 mb3 vw0 
s_mov_b32 s32, 6                                   // 
_v_cmpx_eq_u32 s[32:33], v4, s32                   // is thread in edge glvw region
v_and_b32 v0, 63, v[vgprSerial]                    // permute register between threads
v_lshlrev_b32 v0, 2, v0                            // permute register between threads
v_accvgpr_read_b32 v5, acc14                       // glvw 2 mb 3 tt1 0 r 0
v_accvgpr_read_b32 v6, acc15                       // glvw 2 mb 3 tt1 0 r 0
s_nop 1                                            // v_accvgpr read vgpr after write vgpr: 2 wait states
v_accvgpr_write_b32 acc12, v5                      // 
v_accvgpr_write_b32 acc13, v6                      // 
s_mov_b64 s[32:33], 0xFFFFFFFFFFFFFFFF             // to restore all threads active
s_or_saveexec_b64 vcc, s[32:33]                    // all threads active
s_branch label_0153                                // done shifting


/******************************************/
/* shift d0 r=2 mb=4 vw0                  */
/******************************************/
label_0081: // r2 mb4 vw0 
s_mov_b32 s32, 8                                   // 
_v_cmpx_eq_u32 s[32:33], v4, s32                   // is thread in edge glvw region
v_and_b32 v0, 63, v[vgprSerial]                    // permute register between threads
v_lshlrev_b32 v0, 2, v0                            // permute register between threads
v_accvgpr_read_b32 v5, acc18                       // glvw 2 mb 4 tt1 0 r 0
v_accvgpr_read_b32 v6, acc19                       // glvw 2 mb 4 tt1 0 r 0
s_nop 1                                            // v_accvgpr read vgpr after write vgpr: 2 wait states
v_accvgpr_write_b32 acc16, v5                      // 
v_accvgpr_write_b32 acc17, v6                      // 
s_mov_b64 s[32:33], 0xFFFFFFFFFFFFFFFF             // to restore all threads active
s_or_saveexec_b64 vcc, s[32:33]                    // all threads active
s_branch label_0153                                // done shifting


/******************************************/
/* shift d0 r=2 mb=5 vw0                  */
/******************************************/
label_0083: // r2 mb5 vw0 
s_mov_b32 s32, 10                                  // 
_v_cmpx_eq_u32 s[32:33], v4, s32                   // is thread in edge glvw region
v_and_b32 v0, 63, v[vgprSerial]                    // permute register between threads
v_lshlrev_b32 v0, 2, v0                            // permute register between threads
v_accvgpr_read_b32 v5, acc22                       // glvw 2 mb 5 tt1 0 r 0
v_accvgpr_read_b32 v6, acc23                       // glvw 2 mb 5 tt1 0 r 0
s_nop 1                                            // v_accvgpr read vgpr after write vgpr: 2 wait states
v_accvgpr_write_b32 acc20, v5                      // 
v_accvgpr_write_b32 acc21, v6                      // 
s_mov_b64 s[32:33], 0xFFFFFFFFFFFFFFFF             // to restore all threads active
s_or_saveexec_b64 vcc, s[32:33]                    // all threads active
s_branch label_0153                                // done shifting


/******************************************/
/* shift d0 r=2 mb=6 vw0                  */
/******************************************/
label_0085: // r2 mb6 vw0 
s_mov_b32 s32, 12                                  // 
_v_cmpx_eq_u32 s[32:33], v4, s32                   // is thread in edge glvw region
v_and_b32 v0, 63, v[vgprSerial]                    // permute register between threads
v_lshlrev_b32 v0, 2, v0                            // permute register between threads
v_accvgpr_read_b32 v5, acc26                       // glvw 2 mb 6 tt1 0 r 0
v_accvgpr_read_b32 v6, acc27                       // glvw 2 mb 6 tt1 0 r 0
s_nop 1                                            // v_accvgpr read vgpr after write vgpr: 2 wait states
v_accvgpr_write_b32 acc24, v5                      // 
v_accvgpr_write_b32 acc25, v6                      // 
s_mov_b64 s[32:33], 0xFFFFFFFFFFFFFFFF             // to restore all threads active
s_or_saveexec_b64 vcc, s[32:33]                    // all threads active
s_branch label_0153                                // done shifting


/******************************************/
/* shift d0 r=2 mb=7 vw0                  */
/******************************************/
label_0087: // r2 mb7 vw0 
s_mov_b32 s32, 14                                  // 
_v_cmpx_eq_u32 s[32:33], v4, s32                   // is thread in edge glvw region
v_and_b32 v0, 63, v[vgprSerial]                    // permute register between threads
v_lshlrev_b32 v0, 2, v0                            // permute register between threads
v_accvgpr_read_b32 v5, acc30                       // glvw 2 mb 7 tt1 0 r 0
v_accvgpr_read_b32 v6, acc31                       // glvw 2 mb 7 tt1 0 r 0
s_nop 1                                            // v_accvgpr read vgpr after write vgpr: 2 wait states
v_accvgpr_write_b32 acc28, v5                      // 
v_accvgpr_write_b32 acc29, v6                      // 
s_mov_b64 s[32:33], 0xFFFFFFFFFFFFFFFF             // to restore all threads active
s_or_saveexec_b64 vcc, s[32:33]                    // all threads active
s_branch label_0153                                // done shifting


/******************************************/
/* shift d0 r=2 mb=8 vw0                  */
/******************************************/
label_0089: // r2 mb8 vw0 
s_mov_b32 s32, 16                                  // 
_v_cmpx_eq_u32 s[32:33], v4, s32                   // is thread in edge glvw region
v_and_b32 v0, 63, v[vgprSerial]                    // permute register between threads
v_lshlrev_b32 v0, 2, v0                            // permute register between threads
v_accvgpr_read_b32 v5, acc34                       // glvw 2 mb 8 tt1 0 r 0
v_accvgpr_read_b32 v6, acc35                       // glvw 2 mb 8 tt1 0 r 0
s_nop 1                                            // v_accvgpr read vgpr after write vgpr: 2 wait states
v_accvgpr_write_b32 acc32, v5                      // 
v_accvgpr_write_b32 acc33, v6                      // 
s_mov_b64 s[32:33], 0xFFFFFFFFFFFFFFFF             // to restore all threads active
s_or_saveexec_b64 vcc, s[32:33]                    // all threads active
s_branch label_0153                                // done shifting


/******************************************/
/* shift d0 r=2 mb=9 vw0                  */
/******************************************/
label_0091: // r2 mb9 vw0 
s_mov_b32 s32, 18                                  // 
_v_cmpx_eq_u32 s[32:33], v4, s32                   // is thread in edge glvw region
v_and_b32 v0, 63, v[vgprSerial]                    // permute register between threads
v_lshlrev_b32 v0, 2, v0                            // permute register between threads
v_accvgpr_read_b32 v5, acc38                       // glvw 2 mb 9 tt1 0 r 0
v_accvgpr_read_b32 v6, acc39                       // glvw 2 mb 9 tt1 0 r 0
s_nop 1                                            // v_accvgpr read vgpr after write vgpr: 2 wait states
v_accvgpr_write_b32 acc36, v5                      // 
v_accvgpr_write_b32 acc37, v6                      // 
s_mov_b64 s[32:33], 0xFFFFFFFFFFFFFFFF             // to restore all threads active
s_or_saveexec_b64 vcc, s[32:33]                    // all threads active
s_branch label_0153                                // done shifting


/******************************************/
/* shift d0 r=2 mb=10 vw0                 */
/******************************************/
label_0093: // r2 mb10 vw0 
s_mov_b32 s32, 20                                  // 
_v_cmpx_eq_u32 s[32:33], v4, s32                   // is thread in edge glvw region
v_and_b32 v0, 63, v[vgprSerial]                    // permute register between threads
v_lshlrev_b32 v0, 2, v0                            // permute register between threads
v_accvgpr_read_b32 v5, acc42                       // glvw 2 mb 10 tt1 0 r 0
v_accvgpr_read_b32 v6, acc43                       // glvw 2 mb 10 tt1 0 r 0
s_nop 1                                            // v_accvgpr read vgpr after write vgpr: 2 wait states
v_accvgpr_write_b32 acc40, v5                      // 
v_accvgpr_write_b32 acc41, v6                      // 
s_mov_b64 s[32:33], 0xFFFFFFFFFFFFFFFF             // to restore all threads active
s_or_saveexec_b64 vcc, s[32:33]                    // all threads active
s_branch label_0153                                // done shifting


/******************************************/
/* shift d0 r=2 mb=11 vw0                 */
/******************************************/
label_0095: // r2 mb11 vw0 
s_mov_b32 s32, 22                                  // 
_v_cmpx_eq_u32 s[32:33], v4, s32                   // is thread in edge glvw region
v_and_b32 v0, 63, v[vgprSerial]                    // permute register between threads
v_lshlrev_b32 v0, 2, v0                            // permute register between threads
v_accvgpr_read_b32 v5, acc46                       // glvw 2 mb 11 tt1 0 r 0
v_accvgpr_read_b32 v6, acc47                       // glvw 2 mb 11 tt1 0 r 0
s_nop 1                                            // v_accvgpr read vgpr after write vgpr: 2 wait states
v_accvgpr_write_b32 acc44, v5                      // 
v_accvgpr_write_b32 acc45, v6                      // 
s_mov_b64 s[32:33], 0xFFFFFFFFFFFFFFFF             // to restore all threads active
s_or_saveexec_b64 vcc, s[32:33]                    // all threads active
s_branch label_0153                                // done shifting


/******************************************/
/* shift d0 r=2 mb=12 vw0                 */
/******************************************/
label_0097: // r2 mb12 vw0 
s_mov_b32 s32, 24                                  // 
_v_cmpx_eq_u32 s[32:33], v4, s32                   // is thread in edge glvw region
v_and_b32 v0, 63, v[vgprSerial]                    // permute register between threads
v_lshlrev_b32 v0, 2, v0                            // permute register between threads
v_accvgpr_read_b32 v5, acc50                       // glvw 2 mb 12 tt1 0 r 0
v_accvgpr_read_b32 v6, acc51                       // glvw 2 mb 12 tt1 0 r 0
s_nop 1                                            // v_accvgpr read vgpr after write vgpr: 2 wait states
v_accvgpr_write_b32 acc48, v5                      // 
v_accvgpr_write_b32 acc49, v6                      // 
s_mov_b64 s[32:33], 0xFFFFFFFFFFFFFFFF             // to restore all threads active
s_or_saveexec_b64 vcc, s[32:33]                    // all threads active
s_branch label_0153                                // done shifting


/******************************************/
/* shift d0 r=2 mb=13 vw0                 */
/******************************************/
label_0099: // r2 mb13 vw0 
s_mov_b32 s32, 26                                  // 
_v_cmpx_eq_u32 s[32:33], v4, s32                   // is thread in edge glvw region
v_and_b32 v0, 63, v[vgprSerial]                    // permute register between threads
v_lshlrev_b32 v0, 2, v0                            // permute register between threads
v_accvgpr_read_b32 v5, acc54                       // glvw 2 mb 13 tt1 0 r 0
v_accvgpr_read_b32 v6, acc55                       // glvw 2 mb 13 tt1 0 r 0
s_nop 1                                            // v_accvgpr read vgpr after write vgpr: 2 wait states
v_accvgpr_write_b32 acc52, v5                      // 
v_accvgpr_write_b32 acc53, v6                      // 
s_mov_b64 s[32:33], 0xFFFFFFFFFFFFFFFF             // to restore all threads active
s_or_saveexec_b64 vcc, s[32:33]                    // all threads active
s_branch label_0153                                // done shifting


/******************************************/
/* shift d0 r=2 mb=14 vw0                 */
/******************************************/
label_0101: // r2 mb14 vw0 
s_mov_b32 s32, 28                                  // 
_v_cmpx_eq_u32 s[32:33], v4, s32                   // is thread in edge glvw region
v_and_b32 v0, 63, v[vgprSerial]                    // permute register between threads
v_lshlrev_b32 v0, 2, v0                            // permute register between threads
v_accvgpr_read_b32 v5, acc58                       // glvw 2 mb 14 tt1 0 r 0
v_accvgpr_read_b32 v6, acc59                       // glvw 2 mb 14 tt1 0 r 0
s_nop 1                                            // v_accvgpr read vgpr after write vgpr: 2 wait states
v_accvgpr_write_b32 acc56, v5                      // 
v_accvgpr_write_b32 acc57, v6                      // 
s_mov_b64 s[32:33], 0xFFFFFFFFFFFFFFFF             // to restore all threads active
s_or_saveexec_b64 vcc, s[32:33]                    // all threads active
s_branch label_0153                                // done shifting


/******************************************/
/* shift d0 r=2 mb=15 vw0                 */
/******************************************/
label_0103: // r2 mb15 vw0 
s_mov_b32 s32, 30                                  // 
_v_cmpx_eq_u32 s[32:33], v4, s32                   // is thread in edge glvw region
v_and_b32 v0, 63, v[vgprSerial]                    // permute register between threads
v_lshlrev_b32 v0, 2, v0                            // permute register between threads
v_accvgpr_read_b32 v5, acc62                       // glvw 2 mb 15 tt1 0 r 0
v_accvgpr_read_b32 v6, acc63                       // glvw 2 mb 15 tt1 0 r 0
s_nop 1                                            // v_accvgpr read vgpr after write vgpr: 2 wait states
v_accvgpr_write_b32 acc60, v5                      // 
v_accvgpr_write_b32 acc61, v6                      // 
s_mov_b64 s[32:33], 0xFFFFFFFFFFFFFFFF             // to restore all threads active
s_or_saveexec_b64 vcc, s[32:33]                    // all threads active
s_branch label_0153                                // done shifting


/******************************************/
/* shift d0 r=2 mb=16 vw0                 */
/******************************************/
label_0105: // r2 mb16 vw0 
s_mov_b32 s32, 32                                  // 
_v_cmpx_eq_u32 s[32:33], v4, s32                   // is thread in edge glvw region
v_and_b32 v0, 63, v[vgprSerial]                    // permute register between threads
v_lshlrev_b32 v0, 2, v0                            // permute register between threads
v_accvgpr_read_b32 v5, acc66                       // glvw 2 mb 16 tt1 0 r 0
v_accvgpr_read_b32 v6, acc67                       // glvw 2 mb 16 tt1 0 r 0
s_nop 1                                            // v_accvgpr read vgpr after write vgpr: 2 wait states
v_accvgpr_write_b32 acc64, v5                      // 
v_accvgpr_write_b32 acc65, v6                      // 
s_mov_b64 s[32:33], 0xFFFFFFFFFFFFFFFF             // to restore all threads active
s_or_saveexec_b64 vcc, s[32:33]                    // all threads active
s_branch label_0153                                // done shifting


/******************************************/
/* shift d0 r=2 mb=17 vw0                 */
/******************************************/
label_0107: // r2 mb17 vw0 
s_mov_b32 s32, 34                                  // 
_v_cmpx_eq_u32 s[32:33], v4, s32                   // is thread in edge glvw region
v_and_b32 v0, 63, v[vgprSerial]                    // permute register between threads
v_lshlrev_b32 v0, 2, v0                            // permute register between threads
v_accvgpr_read_b32 v5, acc70                       // glvw 2 mb 17 tt1 0 r 0
v_accvgpr_read_b32 v6, acc71                       // glvw 2 mb 17 tt1 0 r 0
s_nop 1                                            // v_accvgpr read vgpr after write vgpr: 2 wait states
v_accvgpr_write_b32 acc68, v5                      // 
v_accvgpr_write_b32 acc69, v6                      // 
s_mov_b64 s[32:33], 0xFFFFFFFFFFFFFFFF             // to restore all threads active
s_or_saveexec_b64 vcc, s[32:33]                    // all threads active
s_branch label_0153                                // done shifting


/******************************************/
/* shift d0 r=2 mb=18 vw0                 */
/******************************************/
label_0109: // r2 mb18 vw0 
s_mov_b32 s32, 36                                  // 
_v_cmpx_eq_u32 s[32:33], v4, s32                   // is thread in edge glvw region
v_and_b32 v0, 63, v[vgprSerial]                    // permute register between threads
v_lshlrev_b32 v0, 2, v0                            // permute register between threads
v_accvgpr_read_b32 v5, acc74                       // glvw 2 mb 18 tt1 0 r 0
v_accvgpr_read_b32 v6, acc75                       // glvw 2 mb 18 tt1 0 r 0
s_nop 1                                            // v_accvgpr read vgpr after write vgpr: 2 wait states
v_accvgpr_write_b32 acc72, v5                      // 
v_accvgpr_write_b32 acc73, v6                      // 
s_mov_b64 s[32:33], 0xFFFFFFFFFFFFFFFF             // to restore all threads active
s_or_saveexec_b64 vcc, s[32:33]                    // all threads active
s_branch label_0153                                // done shifting


/******************************************/
/* shift d0 r=2 mb=19 vw0                 */
/******************************************/
label_0111: // r2 mb19 vw0 
s_mov_b32 s32, 38                                  // 
_v_cmpx_eq_u32 s[32:33], v4, s32                   // is thread in edge glvw region
v_and_b32 v0, 63, v[vgprSerial]                    // permute register between threads
v_lshlrev_b32 v0, 2, v0                            // permute register between threads
v_accvgpr_read_b32 v5, acc78                       // glvw 2 mb 19 tt1 0 r 0
v_accvgpr_read_b32 v6, acc79                       // glvw 2 mb 19 tt1 0 r 0
s_nop 1                                            // v_accvgpr read vgpr after write vgpr: 2 wait states
v_accvgpr_write_b32 acc76, v5                      // 
v_accvgpr_write_b32 acc77, v6                      // 
s_mov_b64 s[32:33], 0xFFFFFFFFFFFFFFFF             // to restore all threads active
s_or_saveexec_b64 vcc, s[32:33]                    // all threads active
s_branch label_0153                                // done shifting


/******************************************/
/* shift d0 r=3 mb=0 vw0                  */
/******************************************/
label_0114: // r3 mb0 vw0 
s_mov_b32 s32, 0                                   // 
_v_cmpx_eq_u32 s[32:33], v4, s32                   // is thread in edge glvw region
v_and_b32 v0, 63, v[vgprSerial]                    // permute register between threads
v_lshlrev_b32 v0, 2, v0                            // permute register between threads
v_accvgpr_read_b32 v5, acc1                        // glvw 3 mb 0 tt1 0 r 0
v_accvgpr_read_b32 v6, acc2                        // glvw 3 mb 0 tt1 0 r 0
v_accvgpr_read_b32 v7, acc3                        // glvw 3 mb 0 tt1 0 r 0
s_nop 1                                            // v_accvgpr read vgpr after write vgpr: 2 wait states
v_accvgpr_write_b32 acc0, v5                       // 
v_accvgpr_write_b32 acc1, v6                       // 
v_accvgpr_write_b32 acc2, v7                       // 
s_mov_b64 s[32:33], 0xFFFFFFFFFFFFFFFF             // to restore all threads active
s_or_saveexec_b64 vcc, s[32:33]                    // all threads active
s_branch label_0153                                // done shifting


/******************************************/
/* shift d0 r=3 mb=1 vw0                  */
/******************************************/
label_0116: // r3 mb1 vw0 
s_mov_b32 s32, 2                                   // 
_v_cmpx_eq_u32 s[32:33], v4, s32                   // is thread in edge glvw region
v_and_b32 v0, 63, v[vgprSerial]                    // permute register between threads
v_lshlrev_b32 v0, 2, v0                            // permute register between threads
v_accvgpr_read_b32 v5, acc5                        // glvw 3 mb 1 tt1 0 r 0
v_accvgpr_read_b32 v6, acc6                        // glvw 3 mb 1 tt1 0 r 0
v_accvgpr_read_b32 v7, acc7                        // glvw 3 mb 1 tt1 0 r 0
s_nop 1                                            // v_accvgpr read vgpr after write vgpr: 2 wait states
v_accvgpr_write_b32 acc4, v5                       // 
v_accvgpr_write_b32 acc5, v6                       // 
v_accvgpr_write_b32 acc6, v7                       // 
s_mov_b64 s[32:33], 0xFFFFFFFFFFFFFFFF             // to restore all threads active
s_or_saveexec_b64 vcc, s[32:33]                    // all threads active
s_branch label_0153                                // done shifting


/******************************************/
/* shift d0 r=3 mb=2 vw0                  */
/******************************************/
label_0118: // r3 mb2 vw0 
s_mov_b32 s32, 4                                   // 
_v_cmpx_eq_u32 s[32:33], v4, s32                   // is thread in edge glvw region
v_and_b32 v0, 63, v[vgprSerial]                    // permute register between threads
v_lshlrev_b32 v0, 2, v0                            // permute register between threads
v_accvgpr_read_b32 v5, acc9                        // glvw 3 mb 2 tt1 0 r 0
v_accvgpr_read_b32 v6, acc10                       // glvw 3 mb 2 tt1 0 r 0
v_accvgpr_read_b32 v7, acc11                       // glvw 3 mb 2 tt1 0 r 0
s_nop 1                                            // v_accvgpr read vgpr after write vgpr: 2 wait states
v_accvgpr_write_b32 acc8, v5                       // 
v_accvgpr_write_b32 acc9, v6                       // 
v_accvgpr_write_b32 acc10, v7                      // 
s_mov_b64 s[32:33], 0xFFFFFFFFFFFFFFFF             // to restore all threads active
s_or_saveexec_b64 vcc, s[32:33]                    // all threads active
s_branch label_0153                                // done shifting


/******************************************/
/* shift d0 r=3 mb=3 vw0                  */
/******************************************/
label_0120: // r3 mb3 vw0 
s_mov_b32 s32, 6                                   // 
_v_cmpx_eq_u32 s[32:33], v4, s32                   // is thread in edge glvw region
v_and_b32 v0, 63, v[vgprSerial]                    // permute register between threads
v_lshlrev_b32 v0, 2, v0                            // permute register between threads
v_accvgpr_read_b32 v5, acc13                       // glvw 3 mb 3 tt1 0 r 0
v_accvgpr_read_b32 v6, acc14                       // glvw 3 mb 3 tt1 0 r 0
v_accvgpr_read_b32 v7, acc15                       // glvw 3 mb 3 tt1 0 r 0
s_nop 1                                            // v_accvgpr read vgpr after write vgpr: 2 wait states
v_accvgpr_write_b32 acc12, v5                      // 
v_accvgpr_write_b32 acc13, v6                      // 
v_accvgpr_write_b32 acc14, v7                      // 
s_mov_b64 s[32:33], 0xFFFFFFFFFFFFFFFF             // to restore all threads active
s_or_saveexec_b64 vcc, s[32:33]                    // all threads active
s_branch label_0153                                // done shifting


/******************************************/
/* shift d0 r=3 mb=4 vw0                  */
/******************************************/
label_0122: // r3 mb4 vw0 
s_mov_b32 s32, 8                                   // 
_v_cmpx_eq_u32 s[32:33], v4, s32                   // is thread in edge glvw region
v_and_b32 v0, 63, v[vgprSerial]                    // permute register between threads
v_lshlrev_b32 v0, 2, v0                            // permute register between threads
v_accvgpr_read_b32 v5, acc17                       // glvw 3 mb 4 tt1 0 r 0
v_accvgpr_read_b32 v6, acc18                       // glvw 3 mb 4 tt1 0 r 0
v_accvgpr_read_b32 v7, acc19                       // glvw 3 mb 4 tt1 0 r 0
s_nop 1                                            // v_accvgpr read vgpr after write vgpr: 2 wait states
v_accvgpr_write_b32 acc16, v5                      // 
v_accvgpr_write_b32 acc17, v6                      // 
v_accvgpr_write_b32 acc18, v7                      // 
s_mov_b64 s[32:33], 0xFFFFFFFFFFFFFFFF             // to restore all threads active
s_or_saveexec_b64 vcc, s[32:33]                    // all threads active
s_branch label_0153                                // done shifting


/******************************************/
/* shift d0 r=3 mb=5 vw0                  */
/******************************************/
label_0124: // r3 mb5 vw0 
s_mov_b32 s32, 10                                  // 
_v_cmpx_eq_u32 s[32:33], v4, s32                   // is thread in edge glvw region
v_and_b32 v0, 63, v[vgprSerial]                    // permute register between threads
v_lshlrev_b32 v0, 2, v0                            // permute register between threads
v_accvgpr_read_b32 v5, acc21                       // glvw 3 mb 5 tt1 0 r 0
v_accvgpr_read_b32 v6, acc22                       // glvw 3 mb 5 tt1 0 r 0
v_accvgpr_read_b32 v7, acc23                       // glvw 3 mb 5 tt1 0 r 0
s_nop 1                                            // v_accvgpr read vgpr after write vgpr: 2 wait states
v_accvgpr_write_b32 acc20, v5                      // 
v_accvgpr_write_b32 acc21, v6                      // 
v_accvgpr_write_b32 acc22, v7                      // 
s_mov_b64 s[32:33], 0xFFFFFFFFFFFFFFFF             // to restore all threads active
s_or_saveexec_b64 vcc, s[32:33]                    // all threads active
s_branch label_0153                                // done shifting


/******************************************/
/* shift d0 r=3 mb=6 vw0                  */
/******************************************/
label_0126: // r3 mb6 vw0 
s_mov_b32 s32, 12                                  // 
_v_cmpx_eq_u32 s[32:33], v4, s32                   // is thread in edge glvw region
v_and_b32 v0, 63, v[vgprSerial]                    // permute register between threads
v_lshlrev_b32 v0, 2, v0                            // permute register between threads
v_accvgpr_read_b32 v5, acc25                       // glvw 3 mb 6 tt1 0 r 0
v_accvgpr_read_b32 v6, acc26                       // glvw 3 mb 6 tt1 0 r 0
v_accvgpr_read_b32 v7, acc27                       // glvw 3 mb 6 tt1 0 r 0
s_nop 1                                            // v_accvgpr read vgpr after write vgpr: 2 wait states
v_accvgpr_write_b32 acc24, v5                      // 
v_accvgpr_write_b32 acc25, v6                      // 
v_accvgpr_write_b32 acc26, v7                      // 
s_mov_b64 s[32:33], 0xFFFFFFFFFFFFFFFF             // to restore all threads active
s_or_saveexec_b64 vcc, s[32:33]                    // all threads active
s_branch label_0153                                // done shifting


/******************************************/
/* shift d0 r=3 mb=7 vw0                  */
/******************************************/
label_0128: // r3 mb7 vw0 
s_mov_b32 s32, 14                                  // 
_v_cmpx_eq_u32 s[32:33], v4, s32                   // is thread in edge glvw region
v_and_b32 v0, 63, v[vgprSerial]                    // permute register between threads
v_lshlrev_b32 v0, 2, v0                            // permute register between threads
v_accvgpr_read_b32 v5, acc29                       // glvw 3 mb 7 tt1 0 r 0
v_accvgpr_read_b32 v6, acc30                       // glvw 3 mb 7 tt1 0 r 0
v_accvgpr_read_b32 v7, acc31                       // glvw 3 mb 7 tt1 0 r 0
s_nop 1                                            // v_accvgpr read vgpr after write vgpr: 2 wait states
v_accvgpr_write_b32 acc28, v5                      // 
v_accvgpr_write_b32 acc29, v6                      // 
v_accvgpr_write_b32 acc30, v7                      // 
s_mov_b64 s[32:33], 0xFFFFFFFFFFFFFFFF             // to restore all threads active
s_or_saveexec_b64 vcc, s[32:33]                    // all threads active
s_branch label_0153                                // done shifting


/******************************************/
/* shift d0 r=3 mb=8 vw0                  */
/******************************************/
label_0130: // r3 mb8 vw0 
s_mov_b32 s32, 16                                  // 
_v_cmpx_eq_u32 s[32:33], v4, s32                   // is thread in edge glvw region
v_and_b32 v0, 63, v[vgprSerial]                    // permute register between threads
v_lshlrev_b32 v0, 2, v0                            // permute register between threads
v_accvgpr_read_b32 v5, acc33                       // glvw 3 mb 8 tt1 0 r 0
v_accvgpr_read_b32 v6, acc34                       // glvw 3 mb 8 tt1 0 r 0
v_accvgpr_read_b32 v7, acc35                       // glvw 3 mb 8 tt1 0 r 0
s_nop 1                                            // v_accvgpr read vgpr after write vgpr: 2 wait states
v_accvgpr_write_b32 acc32, v5                      // 
v_accvgpr_write_b32 acc33, v6                      // 
v_accvgpr_write_b32 acc34, v7                      // 
s_mov_b64 s[32:33], 0xFFFFFFFFFFFFFFFF             // to restore all threads active
s_or_saveexec_b64 vcc, s[32:33]                    // all threads active
s_branch label_0153                                // done shifting


/******************************************/
/* shift d0 r=3 mb=9 vw0                  */
/******************************************/
label_0132: // r3 mb9 vw0 
s_mov_b32 s32, 18                                  // 
_v_cmpx_eq_u32 s[32:33], v4, s32                   // is thread in edge glvw region
v_and_b32 v0, 63, v[vgprSerial]                    // permute register between threads
v_lshlrev_b32 v0, 2, v0                            // permute register between threads
v_accvgpr_read_b32 v5, acc37                       // glvw 3 mb 9 tt1 0 r 0
v_accvgpr_read_b32 v6, acc38                       // glvw 3 mb 9 tt1 0 r 0
v_accvgpr_read_b32 v7, acc39                       // glvw 3 mb 9 tt1 0 r 0
s_nop 1                                            // v_accvgpr read vgpr after write vgpr: 2 wait states
v_accvgpr_write_b32 acc36, v5                      // 
v_accvgpr_write_b32 acc37, v6                      // 
v_accvgpr_write_b32 acc38, v7                      // 
s_mov_b64 s[32:33], 0xFFFFFFFFFFFFFFFF             // to restore all threads active
s_or_saveexec_b64 vcc, s[32:33]                    // all threads active
s_branch label_0153                                // done shifting


/******************************************/
/* shift d0 r=3 mb=10 vw0                 */
/******************************************/
label_0134: // r3 mb10 vw0 
s_mov_b32 s32, 20                                  // 
_v_cmpx_eq_u32 s[32:33], v4, s32                   // is thread in edge glvw region
v_and_b32 v0, 63, v[vgprSerial]                    // permute register between threads
v_lshlrev_b32 v0, 2, v0                            // permute register between threads
v_accvgpr_read_b32 v5, acc41                       // glvw 3 mb 10 tt1 0 r 0
v_accvgpr_read_b32 v6, acc42                       // glvw 3 mb 10 tt1 0 r 0
v_accvgpr_read_b32 v7, acc43                       // glvw 3 mb 10 tt1 0 r 0
s_nop 1                                            // v_accvgpr read vgpr after write vgpr: 2 wait states
v_accvgpr_write_b32 acc40, v5                      // 
v_accvgpr_write_b32 acc41, v6                      // 
v_accvgpr_write_b32 acc42, v7                      // 
s_mov_b64 s[32:33], 0xFFFFFFFFFFFFFFFF             // to restore all threads active
s_or_saveexec_b64 vcc, s[32:33]                    // all threads active
s_branch label_0153                                // done shifting


/******************************************/
/* shift d0 r=3 mb=11 vw0                 */
/******************************************/
label_0136: // r3 mb11 vw0 
s_mov_b32 s32, 22                                  // 
_v_cmpx_eq_u32 s[32:33], v4, s32                   // is thread in edge glvw region
v_and_b32 v0, 63, v[vgprSerial]                    // permute register between threads
v_lshlrev_b32 v0, 2, v0                            // permute register between threads
v_accvgpr_read_b32 v5, acc45                       // glvw 3 mb 11 tt1 0 r 0
v_accvgpr_read_b32 v6, acc46                       // glvw 3 mb 11 tt1 0 r 0
v_accvgpr_read_b32 v7, acc47                       // glvw 3 mb 11 tt1 0 r 0
s_nop 1                                            // v_accvgpr read vgpr after write vgpr: 2 wait states
v_accvgpr_write_b32 acc44, v5                      // 
v_accvgpr_write_b32 acc45, v6                      // 
v_accvgpr_write_b32 acc46, v7                      // 
s_mov_b64 s[32:33], 0xFFFFFFFFFFFFFFFF             // to restore all threads active
s_or_saveexec_b64 vcc, s[32:33]                    // all threads active
s_branch label_0153                                // done shifting


/******************************************/
/* shift d0 r=3 mb=12 vw0                 */
/******************************************/
label_0138: // r3 mb12 vw0 
s_mov_b32 s32, 24                                  // 
_v_cmpx_eq_u32 s[32:33], v4, s32                   // is thread in edge glvw region
v_and_b32 v0, 63, v[vgprSerial]                    // permute register between threads
v_lshlrev_b32 v0, 2, v0                            // permute register between threads
v_accvgpr_read_b32 v5, acc49                       // glvw 3 mb 12 tt1 0 r 0
v_accvgpr_read_b32 v6, acc50                       // glvw 3 mb 12 tt1 0 r 0
v_accvgpr_read_b32 v7, acc51                       // glvw 3 mb 12 tt1 0 r 0
s_nop 1                                            // v_accvgpr read vgpr after write vgpr: 2 wait states
v_accvgpr_write_b32 acc48, v5                      // 
v_accvgpr_write_b32 acc49, v6                      // 
v_accvgpr_write_b32 acc50, v7                      // 
s_mov_b64 s[32:33], 0xFFFFFFFFFFFFFFFF             // to restore all threads active
s_or_saveexec_b64 vcc, s[32:33]                    // all threads active
s_branch label_0153                                // done shifting


/******************************************/
/* shift d0 r=3 mb=13 vw0                 */
/******************************************/
label_0140: // r3 mb13 vw0 
s_mov_b32 s32, 26                                  // 
_v_cmpx_eq_u32 s[32:33], v4, s32                   // is thread in edge glvw region
v_and_b32 v0, 63, v[vgprSerial]                    // permute register between threads
v_lshlrev_b32 v0, 2, v0                            // permute register between threads
v_accvgpr_read_b32 v5, acc53                       // glvw 3 mb 13 tt1 0 r 0
v_accvgpr_read_b32 v6, acc54                       // glvw 3 mb 13 tt1 0 r 0
v_accvgpr_read_b32 v7, acc55                       // glvw 3 mb 13 tt1 0 r 0
s_nop 1                                            // v_accvgpr read vgpr after write vgpr: 2 wait states
v_accvgpr_write_b32 acc52, v5                      // 
v_accvgpr_write_b32 acc53, v6                      // 
v_accvgpr_write_b32 acc54, v7                      // 
s_mov_b64 s[32:33], 0xFFFFFFFFFFFFFFFF             // to restore all threads active
s_or_saveexec_b64 vcc, s[32:33]                    // all threads active
s_branch label_0153                                // done shifting


/******************************************/
/* shift d0 r=3 mb=14 vw0                 */
/******************************************/
label_0142: // r3 mb14 vw0 
s_mov_b32 s32, 28                                  // 
_v_cmpx_eq_u32 s[32:33], v4, s32                   // is thread in edge glvw region
v_and_b32 v0, 63, v[vgprSerial]                    // permute register between threads
v_lshlrev_b32 v0, 2, v0                            // permute register between threads
v_accvgpr_read_b32 v5, acc57                       // glvw 3 mb 14 tt1 0 r 0
v_accvgpr_read_b32 v6, acc58                       // glvw 3 mb 14 tt1 0 r 0
v_accvgpr_read_b32 v7, acc59                       // glvw 3 mb 14 tt1 0 r 0
s_nop 1                                            // v_accvgpr read vgpr after write vgpr: 2 wait states
v_accvgpr_write_b32 acc56, v5                      // 
v_accvgpr_write_b32 acc57, v6                      // 
v_accvgpr_write_b32 acc58, v7                      // 
s_mov_b64 s[32:33], 0xFFFFFFFFFFFFFFFF             // to restore all threads active
s_or_saveexec_b64 vcc, s[32:33]                    // all threads active
s_branch label_0153                                // done shifting


/******************************************/
/* shift d0 r=3 mb=15 vw0                 */
/******************************************/
label_0144: // r3 mb15 vw0 
s_mov_b32 s32, 30                                  // 
_v_cmpx_eq_u32 s[32:33], v4, s32                   // is thread in edge glvw region
v_and_b32 v0, 63, v[vgprSerial]                    // permute register between threads
v_lshlrev_b32 v0, 2, v0                            // permute register between threads
v_accvgpr_read_b32 v5, acc61                       // glvw 3 mb 15 tt1 0 r 0
v_accvgpr_read_b32 v6, acc62                       // glvw 3 mb 15 tt1 0 r 0
v_accvgpr_read_b32 v7, acc63                       // glvw 3 mb 15 tt1 0 r 0
s_nop 1                                            // v_accvgpr read vgpr after write vgpr: 2 wait states
v_accvgpr_write_b32 acc60, v5                      // 
v_accvgpr_write_b32 acc61, v6                      // 
v_accvgpr_write_b32 acc62, v7                      // 
s_mov_b64 s[32:33], 0xFFFFFFFFFFFFFFFF             // to restore all threads active
s_or_saveexec_b64 vcc, s[32:33]                    // all threads active
s_branch label_0153                                // done shifting


/******************************************/
/* shift d0 r=3 mb=16 vw0                 */
/******************************************/
label_0146: // r3 mb16 vw0 
s_mov_b32 s32, 32                                  // 
_v_cmpx_eq_u32 s[32:33], v4, s32                   // is thread in edge glvw region
v_and_b32 v0, 63, v[vgprSerial]                    // permute register between threads
v_lshlrev_b32 v0, 2, v0                            // permute register between threads
v_accvgpr_read_b32 v5, acc65                       // glvw 3 mb 16 tt1 0 r 0
v_accvgpr_read_b32 v6, acc66                       // glvw 3 mb 16 tt1 0 r 0
v_accvgpr_read_b32 v7, acc67                       // glvw 3 mb 16 tt1 0 r 0
s_nop 1                                            // v_accvgpr read vgpr after write vgpr: 2 wait states
v_accvgpr_write_b32 acc64, v5                      // 
v_accvgpr_write_b32 acc65, v6                      // 
v_accvgpr_write_b32 acc66, v7                      // 
s_mov_b64 s[32:33], 0xFFFFFFFFFFFFFFFF             // to restore all threads active
s_or_saveexec_b64 vcc, s[32:33]                    // all threads active
s_branch label_0153                                // done shifting


/******************************************/
/* shift d0 r=3 mb=17 vw0                 */
/******************************************/
label_0148: // r3 mb17 vw0 
s_mov_b32 s32, 34                                  // 
_v_cmpx_eq_u32 s[32:33], v4, s32                   // is thread in edge glvw region
v_and_b32 v0, 63, v[vgprSerial]                    // permute register between threads
v_lshlrev_b32 v0, 2, v0                            // permute register between threads
v_accvgpr_read_b32 v5, acc69                       // glvw 3 mb 17 tt1 0 r 0
v_accvgpr_read_b32 v6, acc70                       // glvw 3 mb 17 tt1 0 r 0
v_accvgpr_read_b32 v7, acc71                       // glvw 3 mb 17 tt1 0 r 0
s_nop 1                                            // v_accvgpr read vgpr after write vgpr: 2 wait states
v_accvgpr_write_b32 acc68, v5                      // 
v_accvgpr_write_b32 acc69, v6                      // 
v_accvgpr_write_b32 acc70, v7                      // 
s_mov_b64 s[32:33], 0xFFFFFFFFFFFFFFFF             // to restore all threads active
s_or_saveexec_b64 vcc, s[32:33]                    // all threads active
s_branch label_0153                                // done shifting


/******************************************/
/* shift d0 r=3 mb=18 vw0                 */
/******************************************/
label_0150: // r3 mb18 vw0 
s_mov_b32 s32, 36                                  // 
_v_cmpx_eq_u32 s[32:33], v4, s32                   // is thread in edge glvw region
v_and_b32 v0, 63, v[vgprSerial]                    // permute register between threads
v_lshlrev_b32 v0, 2, v0                            // permute register between threads
v_accvgpr_read_b32 v5, acc73                       // glvw 3 mb 18 tt1 0 r 0
v_accvgpr_read_b32 v6, acc74                       // glvw 3 mb 18 tt1 0 r 0
v_accvgpr_read_b32 v7, acc75                       // glvw 3 mb 18 tt1 0 r 0
s_nop 1                                            // v_accvgpr read vgpr after write vgpr: 2 wait states
v_accvgpr_write_b32 acc72, v5                      // 
v_accvgpr_write_b32 acc73, v6                      // 
v_accvgpr_write_b32 acc74, v7                      // 
s_mov_b64 s[32:33], 0xFFFFFFFFFFFFFFFF             // to restore all threads active
s_or_saveexec_b64 vcc, s[32:33]                    // all threads active
s_branch label_0153                                // done shifting


/******************************************/
/* shift d0 r=3 mb=19 vw0                 */
/******************************************/
label_0152: // r3 mb19 vw0 
s_mov_b32 s32, 38                                  // 
_v_cmpx_eq_u32 s[32:33], v4, s32                   // is thread in edge glvw region
v_and_b32 v0, 63, v[vgprSerial]                    // permute register between threads
v_lshlrev_b32 v0, 2, v0                            // permute register between threads
v_accvgpr_read_b32 v5, acc77                       // glvw 3 mb 19 tt1 0 r 0
v_accvgpr_read_b32 v6, acc78                       // glvw 3 mb 19 tt1 0 r 0
v_accvgpr_read_b32 v7, acc79                       // glvw 3 mb 19 tt1 0 r 0
s_nop 1                                            // v_accvgpr read vgpr after write vgpr: 2 wait states
v_accvgpr_write_b32 acc76, v5                      // 
v_accvgpr_write_b32 acc77, v6                      // 
v_accvgpr_write_b32 acc78, v7                      // 
s_mov_b64 s[32:33], 0xFFFFFFFFFFFFFFFF             // to restore all threads active
s_or_saveexec_b64 vcc, s[32:33]                    // all threads active
s_branch label_0153                                // done shifting

label_0153: // end shift0


	;; [unrolled: 1-line block ×3, first 2 shown]
/* not-LocalSplitU: global write indices */

/* computeStoreVgprs */
v_lshrrev_b32 v4, 6, v[vgprSerial]                 // v4 = v[vgprSerial] / 64
v_lshrrev_b32 v1, 0, v4                            // v1 = v4 / 1
v_mul_lo_u32 v1, 0x20, v1                          // wave coordination offset 1
v_and_b32 v5, 31, v[vgprSerial]                    // v5 = v[vgprSerial] % 32
_v_add_lshl_u32 v1, v5, v1, 0                      // coordination 1 = vwb *(wave_id1 + tid1)
v_mul_lo_u32 v2, v1, s[sgprStrideC1J]              //  offset 1
v_mul_lo_u32 v3, v1, s[sgprStrideD1J]              //  offset 1
v_and_b32 v0, 63, v[vgprSerial]                    // v0 = v[vgprSerial] % 64
v_lshrrev_b32 v0, 5, v0                            // v0 = v0 / 32
v_lshlrev_b32 v0, 0x2, v0                          // thread0 * continuous_output
v_and_b32 v5, 0, v4                                // v5 = v4 % 1
v_mul_lo_u32 v5, 0x20, v5                          // wave coordination offset 0
_v_add_lshl_u32 v0, v5, v0, 0                      // coordination 0 = vwa *(wave_id0 + tid0)
s_mul_i32 s31, 160, s[sgprWorkGroup0]              // wgp0 * MT0
_v_add_u32 v0, s31, v0                             // coord 0 = (tid0/MI_m)*4 + waveG0*MIB_m + MT0*SG0
s_mul_i32 s31, 128, s[sgprWorkGroup1]              // wgp1 * MT1
_v_add_u32 v1, s31, v1                             // coord 1 = (tid0%MI_m) + waveG1*MIB_n + MT1*SG1


/* not-LocalSplitU: global write */

s_cmpk_eq_u32 s[sgprBeta], 0x0                     // Beta == 0
s_cbranch_scc0 GW_Beta_208                         // Branch if Beta is not zero

s_mov_b32 s35, 0x0                                 // STATIC_DIV: divisior=160
s_mul_i32 s34, 0x333, s[sgprSizeI]                 // tmp1 = dividend * magic hi
s_lshl_b64 s[34:35], s[34:35], 0x10                // left shift 16 bits
s_mul_i32 s33, s[sgprSizeI], 0x3334                // tmp0 = dividend * magic lo
s_add_u32 s34, s33, s34                            // add lo
s_addc_u32 s35, s35, 0x0                           // add hi
s_lshr_b64 s[34:35], s[34:35], 0x21                // tmp1 = (dividend * magic) << shift
s_mov_b32 s33, s34                                 // quotient
s_mul_i32 s34, s33, 0xa0                           // quotient*divisor
s_sub_u32 s32, s[sgprSizeI], s34                   // rReg = dividend - quotient*divisor
s_add_u32 s33, -0x1, s[sgprNumWorkGroups0]         // 
s_cmp_ge_u32 s[sgprWorkGroup0], s33                // wg0 >= nwg0-1 ?
s_cselect_b32 s32, s32, 0                          // set rMT0
s_cmpk_gt_u32 s32, 0x0                             // rMT0 > 0
s_cbranch_scc1 GW_B0_E1_199                        // jump if edges required
s_and_b32 s32, 127, s[sgprSizeJ]                   // s32 = s[sgprSizeJ] % 128
s_add_u32 s33, -0x1, s[sgprNumWorkGroups1]         // 
s_cmp_ge_u32 s[sgprWorkGroup1], s33                // wg1 >= nwg1-1
s_cselect_b32 s32, s32, 0                          // set rMT1
s_cmpk_gt_u32 s32, 0x0                             // rMT1 > 0
s_cbranch_scc1 GW_B0_E1_199                        // jump if edges required
GW_B0_E0_196:

/* edge=0, allocate 2 sgpr. perBatchTmpS=2 perBatchMaskS=0 perElementMaskS=0 elementsPerBatch=60 */
/* optSingleColVgpr=1 optSharedColVgpr=0 optSGPRUsage=BufferLoad_Mask optSrdIncForRow=1 */

/******************************************/
/* Global Write Alpha Batch #0 (d1,d0,vc1,vc0) = */
/*    (0,0,0,0:vw4); (0,1,0,0:vw4); (0,2,0,0:vw4); (0,3,0,0:vw4); (0,4,0,0:vw4); (0,5,0,0:vw4); (0,6,0,0:vw4); (0,7,0,0:vw4); (0,8,0,0:vw4); (0,9,0,0:vw4); (0,10,0,0:vw4); (0,11,0,0:vw4); (0,12,0,0:vw4); (0,13,0,0:vw4); (0,14,0,0:vw4); (0,15,0,0:vw4); (0,16,0,0:vw4); (0,17,0,0:vw4); (0,18,0,0:vw4); (0,19,0,0:vw4) */
/******************************************/

/* calc coords, apply mask, and issue loads (if necessary) */
/* (d1,vc1,d0,vc0)=(0,0,0,0) */
/* (d1,vc1,d0,vc0)=(0,0,1,0) */
	;; [unrolled: 1-line block ×20, first 2 shown]
_v_add_lshl_u32 v6, v3, v0, 0x1                    // optSingleColVgpr scaleToBpe: sharedAddrVgpr <- cinRowPtr + coord0, scaled by BPE. BSHERE:coord0=0, coord0Vgpr=0
v_accvgpr_read_b32 v[vgprValuC+8], acc0 // copy acc to vreg[0]
v_accvgpr_read_b32 v[vgprValuC+9], acc1 // copy acc to vreg[1]
v_accvgpr_read_b32 v[vgprValuC+10], acc2 // copy acc to vreg[2]
v_accvgpr_read_b32 v[vgprValuC+11], acc3 // copy acc to vreg[3]
v_accvgpr_read_b32 v[vgprValuC+12], acc4 // copy acc to vreg[4]
v_accvgpr_read_b32 v[vgprValuC+13], acc5 // copy acc to vreg[5]
v_accvgpr_read_b32 v[vgprValuC+14], acc6 // copy acc to vreg[6]
v_accvgpr_read_b32 v[vgprValuC+15], acc7 // copy acc to vreg[7]
v_accvgpr_read_b32 v[vgprValuC+16], acc8 // copy acc to vreg[8]
v_accvgpr_read_b32 v[vgprValuC+17], acc9 // copy acc to vreg[9]
v_accvgpr_read_b32 v[vgprValuC+18], acc10 // copy acc to vreg[10]
v_accvgpr_read_b32 v[vgprValuC+19], acc11 // copy acc to vreg[11]
v_accvgpr_read_b32 v[vgprValuC+20], acc12 // copy acc to vreg[12]
v_accvgpr_read_b32 v[vgprValuC+21], acc13 // copy acc to vreg[13]
v_accvgpr_read_b32 v[vgprValuC+22], acc14 // copy acc to vreg[14]
v_accvgpr_read_b32 v[vgprValuC+23], acc15 // copy acc to vreg[15]
v_accvgpr_read_b32 v[vgprValuC+24], acc16 // copy acc to vreg[16]
v_accvgpr_read_b32 v[vgprValuC+25], acc17 // copy acc to vreg[17]
v_accvgpr_read_b32 v[vgprValuC+26], acc18 // copy acc to vreg[18]
v_accvgpr_read_b32 v[vgprValuC+27], acc19 // copy acc to vreg[19]
v_accvgpr_read_b32 v[vgprValuC+28], acc20 // copy acc to vreg[20]
v_accvgpr_read_b32 v[vgprValuC+29], acc21 // copy acc to vreg[21]
v_accvgpr_read_b32 v[vgprValuC+30], acc22 // copy acc to vreg[22]
v_accvgpr_read_b32 v[vgprValuC+31], acc23 // copy acc to vreg[23]
v_accvgpr_read_b32 v[vgprValuC+32], acc24 // copy acc to vreg[24]
v_accvgpr_read_b32 v[vgprValuC+33], acc25 // copy acc to vreg[25]
v_accvgpr_read_b32 v[vgprValuC+34], acc26 // copy acc to vreg[26]
v_accvgpr_read_b32 v[vgprValuC+35], acc27 // copy acc to vreg[27]
v_accvgpr_read_b32 v[vgprValuC+36], acc28 // copy acc to vreg[28]
v_accvgpr_read_b32 v[vgprValuC+37], acc29 // copy acc to vreg[29]
v_accvgpr_read_b32 v[vgprValuC+38], acc30 // copy acc to vreg[30]
v_accvgpr_read_b32 v[vgprValuC+39], acc31 // copy acc to vreg[31]
v_accvgpr_read_b32 v[vgprValuC+40], acc32 // copy acc to vreg[32]
v_accvgpr_read_b32 v[vgprValuC+41], acc33 // copy acc to vreg[33]
v_accvgpr_read_b32 v[vgprValuC+42], acc34 // copy acc to vreg[34]
v_accvgpr_read_b32 v[vgprValuC+43], acc35 // copy acc to vreg[35]
v_accvgpr_read_b32 v[vgprValuC+44], acc36 // copy acc to vreg[36]
v_accvgpr_read_b32 v[vgprValuC+45], acc37 // copy acc to vreg[37]
v_accvgpr_read_b32 v[vgprValuC+46], acc38 // copy acc to vreg[38]
v_accvgpr_read_b32 v[vgprValuC+47], acc39 // copy acc to vreg[39]
v_accvgpr_read_b32 v[vgprValuC+48], acc40 // copy acc to vreg[40]
v_accvgpr_read_b32 v[vgprValuC+49], acc41 // copy acc to vreg[41]
v_accvgpr_read_b32 v[vgprValuC+50], acc42 // copy acc to vreg[42]
v_accvgpr_read_b32 v[vgprValuC+51], acc43 // copy acc to vreg[43]
v_accvgpr_read_b32 v[vgprValuC+52], acc44 // copy acc to vreg[44]
v_accvgpr_read_b32 v[vgprValuC+53], acc45 // copy acc to vreg[45]
v_accvgpr_read_b32 v[vgprValuC+54], acc46 // copy acc to vreg[46]
v_accvgpr_read_b32 v[vgprValuC+55], acc47 // copy acc to vreg[47]
v_accvgpr_read_b32 v[vgprValuC+56], acc48 // copy acc to vreg[48]
v_accvgpr_read_b32 v[vgprValuC+57], acc49 // copy acc to vreg[49]
v_accvgpr_read_b32 v[vgprValuC+58], acc50 // copy acc to vreg[50]
v_accvgpr_read_b32 v[vgprValuC+59], acc51 // copy acc to vreg[51]
v_accvgpr_read_b32 v[vgprValuC+60], acc52 // copy acc to vreg[52]
v_accvgpr_read_b32 v[vgprValuC+61], acc53 // copy acc to vreg[53]
v_accvgpr_read_b32 v[vgprValuC+62], acc54 // copy acc to vreg[54]
v_accvgpr_read_b32 v[vgprValuC+63], acc55 // copy acc to vreg[55]
v_accvgpr_read_b32 v[vgprValuC+64], acc56 // copy acc to vreg[56]
v_accvgpr_read_b32 v[vgprValuC+65], acc57 // copy acc to vreg[57]
v_accvgpr_read_b32 v[vgprValuC+66], acc58 // copy acc to vreg[58]
v_accvgpr_read_b32 v[vgprValuC+67], acc59 // copy acc to vreg[59]
v_accvgpr_read_b32 v[vgprValuC+68], acc60 // copy acc to vreg[60]
v_accvgpr_read_b32 v[vgprValuC+69], acc61 // copy acc to vreg[61]
v_accvgpr_read_b32 v[vgprValuC+70], acc62 // copy acc to vreg[62]
v_accvgpr_read_b32 v[vgprValuC+71], acc63 // copy acc to vreg[63]
v_accvgpr_read_b32 v[vgprValuC+72], acc64 // copy acc to vreg[64]
v_accvgpr_read_b32 v[vgprValuC+73], acc65 // copy acc to vreg[65]
v_accvgpr_read_b32 v[vgprValuC+74], acc66 // copy acc to vreg[66]
v_accvgpr_read_b32 v[vgprValuC+75], acc67 // copy acc to vreg[67]
v_accvgpr_read_b32 v[vgprValuC+84], acc68 // copy acc to vreg[68]
v_accvgpr_read_b32 v[vgprValuC+85], acc69 // copy acc to vreg[69]
v_accvgpr_read_b32 v[vgprValuC+86], acc70 // copy acc to vreg[70]
v_accvgpr_read_b32 v[vgprValuC+87], acc71 // copy acc to vreg[71]
v_accvgpr_read_b32 v[vgprValuC+88], acc72 // copy acc to vreg[72]
v_accvgpr_read_b32 v[vgprValuC+89], acc73 // copy acc to vreg[73]
v_accvgpr_read_b32 v[vgprValuC+90], acc74 // copy acc to vreg[74]
v_accvgpr_read_b32 v[vgprValuC+91], acc75 // copy acc to vreg[75]
v_accvgpr_read_b32 v[vgprValuC+92], acc76 // copy acc to vreg[76]
v_accvgpr_read_b32 v[vgprValuC+93], acc77 // copy acc to vreg[77]
v_accvgpr_read_b32 v[vgprValuC+94], acc78 // copy acc to vreg[78]
v_accvgpr_read_b32 v[vgprValuC+95], acc79 // copy acc to vreg[79]
s_nop 1                                            // 2 wait states required before reading vgpr

/* rC *= alpha batchElements=[(0, 0, 0, 0), (0, 1, 0, 0), (0, 2, 0, 0), (0, 3, 0, 0), (0, 4, 0, 0), (0, 5, 0, 0), (0, 6, 0, 0), (0, 7, 0, 0), (0, 8, 0, 0), (0, 9, 0, 0), (0, 10, 0, 0), (0, 11, 0, 0), (0, 12, 0, 0), (0, 13, 0, 0), (0, 14, 0, 0), (0, 15, 0, 0), (0, 16, 0, 0), (0, 17, 0, 0), (0, 18, 0, 0), (0, 19, 0, 0)] */
v_mul_f32 v[vgprValuC+8], s[sgprAlpha], v[vgprValuC+8] // *= alpha
v_mul_f32 v[vgprValuC+9], s[sgprAlpha], v[vgprValuC+9] // *= alpha
v_mul_f32 v[vgprValuC+10], s[sgprAlpha], v[vgprValuC+10] // *= alpha
v_mul_f32 v[vgprValuC+11], s[sgprAlpha], v[vgprValuC+11] // *= alpha
v_mul_f32 v[vgprValuC+12], s[sgprAlpha], v[vgprValuC+12] // *= alpha
v_mul_f32 v[vgprValuC+13], s[sgprAlpha], v[vgprValuC+13] // *= alpha
v_mul_f32 v[vgprValuC+14], s[sgprAlpha], v[vgprValuC+14] // *= alpha
v_mul_f32 v[vgprValuC+15], s[sgprAlpha], v[vgprValuC+15] // *= alpha
v_mul_f32 v[vgprValuC+16], s[sgprAlpha], v[vgprValuC+16] // *= alpha
v_mul_f32 v[vgprValuC+17], s[sgprAlpha], v[vgprValuC+17] // *= alpha
v_mul_f32 v[vgprValuC+18], s[sgprAlpha], v[vgprValuC+18] // *= alpha
v_mul_f32 v[vgprValuC+19], s[sgprAlpha], v[vgprValuC+19] // *= alpha
v_mul_f32 v[vgprValuC+20], s[sgprAlpha], v[vgprValuC+20] // *= alpha
v_mul_f32 v[vgprValuC+21], s[sgprAlpha], v[vgprValuC+21] // *= alpha
v_mul_f32 v[vgprValuC+22], s[sgprAlpha], v[vgprValuC+22] // *= alpha
v_mul_f32 v[vgprValuC+23], s[sgprAlpha], v[vgprValuC+23] // *= alpha
v_mul_f32 v[vgprValuC+24], s[sgprAlpha], v[vgprValuC+24] // *= alpha
v_mul_f32 v[vgprValuC+25], s[sgprAlpha], v[vgprValuC+25] // *= alpha
v_mul_f32 v[vgprValuC+26], s[sgprAlpha], v[vgprValuC+26] // *= alpha
v_mul_f32 v[vgprValuC+27], s[sgprAlpha], v[vgprValuC+27] // *= alpha
v_mul_f32 v[vgprValuC+28], s[sgprAlpha], v[vgprValuC+28] // *= alpha
v_mul_f32 v[vgprValuC+29], s[sgprAlpha], v[vgprValuC+29] // *= alpha
v_mul_f32 v[vgprValuC+30], s[sgprAlpha], v[vgprValuC+30] // *= alpha
v_mul_f32 v[vgprValuC+31], s[sgprAlpha], v[vgprValuC+31] // *= alpha
v_mul_f32 v[vgprValuC+32], s[sgprAlpha], v[vgprValuC+32] // *= alpha
v_mul_f32 v[vgprValuC+33], s[sgprAlpha], v[vgprValuC+33] // *= alpha
v_mul_f32 v[vgprValuC+34], s[sgprAlpha], v[vgprValuC+34] // *= alpha
v_mul_f32 v[vgprValuC+35], s[sgprAlpha], v[vgprValuC+35] // *= alpha
v_mul_f32 v[vgprValuC+36], s[sgprAlpha], v[vgprValuC+36] // *= alpha
v_mul_f32 v[vgprValuC+37], s[sgprAlpha], v[vgprValuC+37] // *= alpha
v_mul_f32 v[vgprValuC+38], s[sgprAlpha], v[vgprValuC+38] // *= alpha
v_mul_f32 v[vgprValuC+39], s[sgprAlpha], v[vgprValuC+39] // *= alpha
v_mul_f32 v[vgprValuC+40], s[sgprAlpha], v[vgprValuC+40] // *= alpha
v_mul_f32 v[vgprValuC+41], s[sgprAlpha], v[vgprValuC+41] // *= alpha
v_mul_f32 v[vgprValuC+42], s[sgprAlpha], v[vgprValuC+42] // *= alpha
v_mul_f32 v[vgprValuC+43], s[sgprAlpha], v[vgprValuC+43] // *= alpha
v_mul_f32 v[vgprValuC+44], s[sgprAlpha], v[vgprValuC+44] // *= alpha
v_mul_f32 v[vgprValuC+45], s[sgprAlpha], v[vgprValuC+45] // *= alpha
v_mul_f32 v[vgprValuC+46], s[sgprAlpha], v[vgprValuC+46] // *= alpha
v_mul_f32 v[vgprValuC+47], s[sgprAlpha], v[vgprValuC+47] // *= alpha
v_mul_f32 v[vgprValuC+48], s[sgprAlpha], v[vgprValuC+48] // *= alpha
v_mul_f32 v[vgprValuC+49], s[sgprAlpha], v[vgprValuC+49] // *= alpha
v_mul_f32 v[vgprValuC+50], s[sgprAlpha], v[vgprValuC+50] // *= alpha
v_mul_f32 v[vgprValuC+51], s[sgprAlpha], v[vgprValuC+51] // *= alpha
v_mul_f32 v[vgprValuC+52], s[sgprAlpha], v[vgprValuC+52] // *= alpha
v_mul_f32 v[vgprValuC+53], s[sgprAlpha], v[vgprValuC+53] // *= alpha
v_mul_f32 v[vgprValuC+54], s[sgprAlpha], v[vgprValuC+54] // *= alpha
v_mul_f32 v[vgprValuC+55], s[sgprAlpha], v[vgprValuC+55] // *= alpha
v_mul_f32 v[vgprValuC+56], s[sgprAlpha], v[vgprValuC+56] // *= alpha
v_mul_f32 v[vgprValuC+57], s[sgprAlpha], v[vgprValuC+57] // *= alpha
v_mul_f32 v[vgprValuC+58], s[sgprAlpha], v[vgprValuC+58] // *= alpha
v_mul_f32 v[vgprValuC+59], s[sgprAlpha], v[vgprValuC+59] // *= alpha
v_mul_f32 v[vgprValuC+60], s[sgprAlpha], v[vgprValuC+60] // *= alpha
v_mul_f32 v[vgprValuC+61], s[sgprAlpha], v[vgprValuC+61] // *= alpha
v_mul_f32 v[vgprValuC+62], s[sgprAlpha], v[vgprValuC+62] // *= alpha
v_mul_f32 v[vgprValuC+63], s[sgprAlpha], v[vgprValuC+63] // *= alpha
v_mul_f32 v[vgprValuC+64], s[sgprAlpha], v[vgprValuC+64] // *= alpha
v_mul_f32 v[vgprValuC+65], s[sgprAlpha], v[vgprValuC+65] // *= alpha
v_mul_f32 v[vgprValuC+66], s[sgprAlpha], v[vgprValuC+66] // *= alpha
v_mul_f32 v[vgprValuC+67], s[sgprAlpha], v[vgprValuC+67] // *= alpha
v_mul_f32 v[vgprValuC+68], s[sgprAlpha], v[vgprValuC+68] // *= alpha
v_mul_f32 v[vgprValuC+69], s[sgprAlpha], v[vgprValuC+69] // *= alpha
v_mul_f32 v[vgprValuC+70], s[sgprAlpha], v[vgprValuC+70] // *= alpha
v_mul_f32 v[vgprValuC+71], s[sgprAlpha], v[vgprValuC+71] // *= alpha
v_mul_f32 v[vgprValuC+72], s[sgprAlpha], v[vgprValuC+72] // *= alpha
v_mul_f32 v[vgprValuC+73], s[sgprAlpha], v[vgprValuC+73] // *= alpha
v_mul_f32 v[vgprValuC+74], s[sgprAlpha], v[vgprValuC+74] // *= alpha
v_mul_f32 v[vgprValuC+75], s[sgprAlpha], v[vgprValuC+75] // *= alpha
v_mul_f32 v[vgprValuC+84], s[sgprAlpha], v[vgprValuC+84] // *= alpha
v_mul_f32 v[vgprValuC+85], s[sgprAlpha], v[vgprValuC+85] // *= alpha
v_mul_f32 v[vgprValuC+86], s[sgprAlpha], v[vgprValuC+86] // *= alpha
v_mul_f32 v[vgprValuC+87], s[sgprAlpha], v[vgprValuC+87] // *= alpha
v_mul_f32 v[vgprValuC+88], s[sgprAlpha], v[vgprValuC+88] // *= alpha
v_mul_f32 v[vgprValuC+89], s[sgprAlpha], v[vgprValuC+89] // *= alpha
v_mul_f32 v[vgprValuC+90], s[sgprAlpha], v[vgprValuC+90] // *= alpha
v_mul_f32 v[vgprValuC+91], s[sgprAlpha], v[vgprValuC+91] // *= alpha
v_mul_f32 v[vgprValuC+92], s[sgprAlpha], v[vgprValuC+92] // *= alpha
v_mul_f32 v[vgprValuC+93], s[sgprAlpha], v[vgprValuC+93] // *= alpha
v_mul_f32 v[vgprValuC+94], s[sgprAlpha], v[vgprValuC+94] // *= alpha
v_mul_f32 v[vgprValuC+95], s[sgprAlpha], v[vgprValuC+95] // *= alpha

/* apply mask, calc new C and issue writes */
v_cvt_f16_f32 v[vgprValuC+8], v[vgprValuC+8]       // convert C to fp16
v_cvt_f16_f32 v[vgprValuC+9], v[vgprValuC+9]       // convert C to fp16
v_pack_b32_f16 v8, v[vgprValuC+8], v[vgprValuC+9]  // Pack with neighbor
v_cvt_f16_f32 v[vgprValuC+10], v[vgprValuC+10]     // convert C to fp16
v_cvt_f16_f32 v[vgprValuC+11], v[vgprValuC+11]     // convert C to fp16
v_pack_b32_f16 v9, v[vgprValuC+10], v[vgprValuC+11] // Pack with neighbor
_buffer_store_b64 v[8:9], v6, s[sgprSrdD:sgprSrdD+3], 0, offen, offset:0 // store D
v_cvt_f16_f32 v[vgprValuC+12], v[vgprValuC+12]     // convert C to fp16
v_cvt_f16_f32 v[vgprValuC+13], v[vgprValuC+13]     // convert C to fp16
v_pack_b32_f16 v12, v[vgprValuC+12], v[vgprValuC+13] // Pack with neighbor
v_cvt_f16_f32 v[vgprValuC+14], v[vgprValuC+14]     // convert C to fp16
v_cvt_f16_f32 v[vgprValuC+15], v[vgprValuC+15]     // convert C to fp16
v_pack_b32_f16 v13, v[vgprValuC+14], v[vgprValuC+15] // Pack with neighbor
_buffer_store_b64 v[12:13], v6, s[sgprSrdD:sgprSrdD+3], 0, offen, offset:16 // store D
v_cvt_f16_f32 v[vgprValuC+16], v[vgprValuC+16]     // convert C to fp16
v_cvt_f16_f32 v[vgprValuC+17], v[vgprValuC+17]     // convert C to fp16
v_pack_b32_f16 v16, v[vgprValuC+16], v[vgprValuC+17] // Pack with neighbor
	;; [unrolled: 7-line block ×19, first 2 shown]
v_cvt_f16_f32 v[vgprValuC+94], v[vgprValuC+94]     // convert C to fp16
v_cvt_f16_f32 v[vgprValuC+95], v[vgprValuC+95]     // convert C to fp16
v_pack_b32_f16 v93, v[vgprValuC+94], v[vgprValuC+95] // Pack with neighbor
_buffer_store_b64 v[92:93], v6, s[sgprSrdD:sgprSrdD+3], 0, offen, offset:304 // store D
s_nop 0                                            // 1 wait state required when next inst writes vgprs held by previous dwordx4 store inst
s_branch label_GW_End_207                          // jump to end
GW_B0_E1_199:

/* edge=1, allocate 6 sgpr. perBatchTmpS=4 perBatchMaskS=2 perElementMaskS=0 elementsPerBatch=122 */
/* optSingleColVgpr=0 optSharedColVgpr=0 optSGPRUsage=BufferLoad_Edge_Mask optSrdIncForRow=0 */

/******************************************/
/* Global Write Alpha Edge Batch #0 (d1,d0,vc1,vc0) = */
/*    (0,0,0,0:vw1); (0,0,0,1:vw1); (0,0,0,2:vw1); (0,0,0,3:vw1); (0,1,0,0:vw1); (0,1,0,1:vw1); (0,1,0,2:vw1); (0,1,0,3:vw1); (0,2,0,0:vw1); (0,2,0,1:vw1); (0,2,0,2:vw1); (0,2,0,3:vw1); (0,3,0,0:vw1); (0,3,0,1:vw1); (0,3,0,2:vw1); (0,3,0,3:vw1); (0,4,0,0:vw1); (0,4,0,1:vw1); (0,4,0,2:vw1); (0,4,0,3:vw1); (0,5,0,0:vw1); (0,5,0,1:vw1); (0,5,0,2:vw1); (0,5,0,3:vw1); (0,6,0,0:vw1); (0,6,0,1:vw1); (0,6,0,2:vw1); (0,6,0,3:vw1); (0,7,0,0:vw1); (0,7,0,1:vw1); (0,7,0,2:vw1); (0,7,0,3:vw1); (0,8,0,0:vw1); (0,8,0,1:vw1); (0,8,0,2:vw1); (0,8,0,3:vw1); (0,9,0,0:vw1); (0,9,0,1:vw1); (0,9,0,2:vw1); (0,9,0,3:vw1); (0,10,0,0:vw1); (0,10,0,1:vw1); (0,10,0,2:vw1); (0,10,0,3:vw1); (0,11,0,0:vw1); (0,11,0,1:vw1); (0,11,0,2:vw1); (0,11,0,3:vw1); (0,12,0,0:vw1); (0,12,0,1:vw1); (0,12,0,2:vw1); (0,12,0,3:vw1); (0,13,0,0:vw1); (0,13,0,1:vw1); (0,13,0,2:vw1); (0,13,0,3:vw1); (0,14,0,0:vw1); (0,14,0,1:vw1); (0,14,0,2:vw1); (0,14,0,3:vw1); (0,15,0,0:vw1); (0,15,0,1:vw1); (0,15,0,2:vw1); (0,15,0,3:vw1); (0,16,0,0:vw1); (0,16,0,1:vw1); (0,16,0,2:vw1); (0,16,0,3:vw1); (0,17,0,0:vw1); (0,17,0,1:vw1); (0,17,0,2:vw1); (0,17,0,3:vw1); (0,18,0,0:vw1); (0,18,0,1:vw1); (0,18,0,2:vw1); (0,18,0,3:vw1); (0,19,0,0:vw1); (0,19,0,1:vw1); (0,19,0,2:vw1); (0,19,0,3:vw1) */
/******************************************/

/* calc coords, apply mask, and issue loads (if necessary) */
/* (d1,vc1,d0,vc0)=(0,0,0,0) */
v_cmp_lt_u32 s[52:53], v0, s[sgprSizeI]            // coord0 < size0
v_cmp_lt_u32 s[56:57], v1, s[sgprSizeJ]            // coord1 < size1
s_and_b64 s[56:57], s[52:53], s[56:57]             // in0 && in1
_v_add_lshl_u32 v6, v3, v0, 0x1                    // scaleToBpe: accumulate d0 lower and *= bpe into Cin addr
v_cndmask_b32 v6, -1, v6, s[56:57]                 // LDD clip if OOB. offset
/* (d1,vc1,d0,vc0)=(0,0,0,1) */
_v_add_co_u32 v4, vcc, v0, 1                       // coord0.1: coord0 += d0*sg0*VW + vc0
v_cmp_lt_u32 s[52:53], v4, s[sgprSizeI]            // coord0 < size0
v_cmp_lt_u32 s[56:57], v1, s[sgprSizeJ]            // coord1 < size1
s_and_b64 s[56:57], s[52:53], s[56:57]             // in0 && in1
_v_add_lshl_u32 v8, v3, v4, 0x1                    // scaleToBpe: accumulate d0 lower and *= bpe into Cin addr
v_cndmask_b32 v8, -1, v8, s[56:57]                 // LDD clip if OOB. offset
/* (d1,vc1,d0,vc0)=(0,0,0,2) */
_v_add_co_u32 v4, vcc, v0, 2                       // coord0.1: coord0 += d0*sg0*VW + vc0
v_cmp_lt_u32 s[52:53], v4, s[sgprSizeI]            // coord0 < size0
v_cmp_lt_u32 s[56:57], v1, s[sgprSizeJ]            // coord1 < size1
s_and_b64 s[56:57], s[52:53], s[56:57]             // in0 && in1
_v_add_lshl_u32 v10, v3, v4, 0x1                   // scaleToBpe: accumulate d0 lower and *= bpe into Cin addr
v_cndmask_b32 v10, -1, v10, s[56:57]               // LDD clip if OOB. offset
/* (d1,vc1,d0,vc0)=(0,0,0,3) */
_v_add_co_u32 v4, vcc, v0, 3                       // coord0.1: coord0 += d0*sg0*VW + vc0
v_cmp_lt_u32 s[52:53], v4, s[sgprSizeI]            // coord0 < size0
v_cmp_lt_u32 s[56:57], v1, s[sgprSizeJ]            // coord1 < size1
s_and_b64 s[56:57], s[52:53], s[56:57]             // in0 && in1
_v_add_lshl_u32 v12, v3, v4, 0x1                   // scaleToBpe: accumulate d0 lower and *= bpe into Cin addr
v_cndmask_b32 v12, -1, v12, s[56:57]               // LDD clip if OOB. offset
	;; [unrolled: 7-line block ×4, first 2 shown]
/* (d1,vc1,d0,vc0)=(0,0,1,2) */
_v_add_co_u32 v4, vcc, v0, 10                      // coord0.1: coord0 += d0*sg0*VW + vc0
v_cmp_lt_u32 s[52:53], v4, s[sgprSizeI]            // coord0 < size0
v_cmp_lt_u32 s[56:57], v1, s[sgprSizeJ]            // coord1 < size1
s_and_b64 s[56:57], s[52:53], s[56:57]             // in0 && in1
_v_add_lshl_u32 v18, v3, v4, 0x1                   // scaleToBpe: accumulate d0 lower and *= bpe into Cin addr
v_cndmask_b32 v18, -1, v18, s[56:57]               // LDD clip if OOB. offset
/* (d1,vc1,d0,vc0)=(0,0,1,3) */
_v_add_co_u32 v4, vcc, v0, 11                      // coord0.1: coord0 += d0*sg0*VW + vc0
v_cmp_lt_u32 s[52:53], v4, s[sgprSizeI]            // coord0 < size0
v_cmp_lt_u32 s[56:57], v1, s[sgprSizeJ]            // coord1 < size1
s_and_b64 s[56:57], s[52:53], s[56:57]             // in0 && in1
_v_add_lshl_u32 v20, v3, v4, 0x1                   // scaleToBpe: accumulate d0 lower and *= bpe into Cin addr
v_cndmask_b32 v20, -1, v20, s[56:57]               // LDD clip if OOB. offset
	;; [unrolled: 7-line block ×27, first 2 shown]
/* (d1,vc1,d0,vc0)=(0,0,8,1) */
s_mov_b32 s52, 65                                  // coordOffset0 d0=8 vc0=1
_v_add_co_u32 v4, vcc, v0, s52                     // coord0.2: coord0 += d0*sg0*VW + vc0
v_cmp_lt_u32 s[52:53], v4, s[sgprSizeI]            // coord0 < size0
v_cmp_lt_u32 s[56:57], v1, s[sgprSizeJ]            // coord1 < size1
s_and_b64 s[56:57], s[52:53], s[56:57]             // in0 && in1
_v_add_lshl_u32 v72, v3, v4, 0x1                   // scaleToBpe: accumulate d0 lower and *= bpe into Cin addr
v_cndmask_b32 v72, -1, v72, s[56:57]               // LDD clip if OOB. offset
/* (d1,vc1,d0,vc0)=(0,0,8,2) */
s_mov_b32 s52, 66                                  // coordOffset0 d0=8 vc0=2
_v_add_co_u32 v4, vcc, v0, s52                     // coord0.2: coord0 += d0*sg0*VW + vc0
v_cmp_lt_u32 s[52:53], v4, s[sgprSizeI]            // coord0 < size0
v_cmp_lt_u32 s[56:57], v1, s[sgprSizeJ]            // coord1 < size1
s_and_b64 s[56:57], s[52:53], s[56:57]             // in0 && in1
_v_add_lshl_u32 v74, v3, v4, 0x1                   // scaleToBpe: accumulate d0 lower and *= bpe into Cin addr
v_cndmask_b32 v74, -1, v74, s[56:57]               // LDD clip if OOB. offset
	;; [unrolled: 8-line block ×13, first 2 shown]
/* (d1,vc1,d0,vc0)=(0,0,11,2) */
s_mov_b32 s52, 90                                  // coordOffset0 d0=11 vc0=2
_v_add_co_u32 v4, vcc, v0, s52                     // coord0.2: coord0 += d0*sg0*VW + vc0
v_cmp_lt_u32 s[52:53], v4, s[sgprSizeI]            // coord0 < size0
v_cmp_lt_u32 s[56:57], v1, s[sgprSizeJ]            // coord1 < size1
s_and_b64 s[56:57], s[52:53], s[56:57]             // in0 && in1
_v_add_lshl_u32 v101, v3, v4, 0x1                  // scaleToBpe: accumulate d0 lower and *= bpe into Cin addr
v_cndmask_b32 v101, -1, v101, s[56:57]             // LDD clip if OOB. offset
/* (d1,vc1,d0,vc0)=(0,0,11,3) */
s_mov_b32 s52, 91                                  // coordOffset0 d0=11 vc0=3
_v_add_co_u32 v4, vcc, v0, s52                     // coord0.2: coord0 += d0*sg0*VW + vc0
v_cmp_lt_u32 s[52:53], v4, s[sgprSizeI]            // coord0 < size0
v_cmp_lt_u32 s[56:57], v1, s[sgprSizeJ]            // coord1 < size1
s_and_b64 s[56:57], s[52:53], s[56:57]             // in0 && in1
_v_add_lshl_u32 v103, v3, v4, 0x1                  // scaleToBpe: accumulate d0 lower and *= bpe into Cin addr
v_cndmask_b32 v103, -1, v103, s[56:57]             // LDD clip if OOB. offset
	;; [unrolled: 8-line block ×6, first 2 shown]
/* (d1,vc1,d0,vc0)=(0,0,13,0) */
s_mov_b32 s52, 104                                 // coordOffset0 d0=13 vc0=0
_v_add_co_u32 v4, vcc, v0, s52                     // coord0.2: coord0 += d0*sg0*VW + vc0
v_cmp_lt_u32 s[52:53], v4, s[sgprSizeI]            // coord0 < size0
v_cmp_lt_u32 s[56:57], v1, s[sgprSizeJ]            // coord1 < size1
s_and_b64 s[56:57], s[52:53], s[56:57]             // in0 && in1
_v_add_lshl_u32 v113, v3, v4, 0x1                  // scaleToBpe: accumulate d0 lower and *= bpe into Cin addr
v_cndmask_b32 v113, -1, v113, s[56:57]             // LDD clip if OOB. offset
/* (d1,vc1,d0,vc0)=(0,0,13,1) */
s_mov_b32 s52, 105                                 // coordOffset0 d0=13 vc0=1
_v_add_co_u32 v4, vcc, v0, s52                     // coord0.2: coord0 += d0*sg0*VW + vc0
v_cmp_lt_u32 s[52:53], v4, s[sgprSizeI]            // coord0 < size0
v_cmp_lt_u32 s[56:57], v1, s[sgprSizeJ]            // coord1 < size1
s_and_b64 s[56:57], s[52:53], s[56:57]             // in0 && in1
_v_add_lshl_u32 v115, v3, v4, 0x1                  // scaleToBpe: accumulate d0 lower and *= bpe into Cin addr
v_cndmask_b32 v115, -1, v115, s[56:57]             // LDD clip if OOB. offset
	;; [unrolled: 8-line block ×28, first 2 shown]
v_accvgpr_read_b32 v[vgprValuC+7], acc0 // copy acc to vreg[0]
v_accvgpr_read_b32 v[vgprValuC+9], acc1 // copy acc to vreg[1]
v_accvgpr_read_b32 v[vgprValuC+11], acc2 // copy acc to vreg[2]
v_accvgpr_read_b32 v[vgprValuC+13], acc3 // copy acc to vreg[3]
v_accvgpr_read_b32 v[vgprValuC+15], acc4 // copy acc to vreg[4]
v_accvgpr_read_b32 v[vgprValuC+17], acc5 // copy acc to vreg[5]
v_accvgpr_read_b32 v[vgprValuC+19], acc6 // copy acc to vreg[6]
v_accvgpr_read_b32 v[vgprValuC+21], acc7 // copy acc to vreg[7]
v_accvgpr_read_b32 v[vgprValuC+23], acc8 // copy acc to vreg[8]
v_accvgpr_read_b32 v[vgprValuC+25], acc9 // copy acc to vreg[9]
v_accvgpr_read_b32 v[vgprValuC+27], acc10 // copy acc to vreg[10]
v_accvgpr_read_b32 v[vgprValuC+29], acc11 // copy acc to vreg[11]
v_accvgpr_read_b32 v[vgprValuC+31], acc12 // copy acc to vreg[12]
v_accvgpr_read_b32 v[vgprValuC+33], acc13 // copy acc to vreg[13]
v_accvgpr_read_b32 v[vgprValuC+35], acc14 // copy acc to vreg[14]
v_accvgpr_read_b32 v[vgprValuC+37], acc15 // copy acc to vreg[15]
v_accvgpr_read_b32 v[vgprValuC+39], acc16 // copy acc to vreg[16]
v_accvgpr_read_b32 v[vgprValuC+41], acc17 // copy acc to vreg[17]
v_accvgpr_read_b32 v[vgprValuC+43], acc18 // copy acc to vreg[18]
v_accvgpr_read_b32 v[vgprValuC+45], acc19 // copy acc to vreg[19]
v_accvgpr_read_b32 v[vgprValuC+47], acc20 // copy acc to vreg[20]
v_accvgpr_read_b32 v[vgprValuC+49], acc21 // copy acc to vreg[21]
v_accvgpr_read_b32 v[vgprValuC+51], acc22 // copy acc to vreg[22]
v_accvgpr_read_b32 v[vgprValuC+53], acc23 // copy acc to vreg[23]
v_accvgpr_read_b32 v[vgprValuC+55], acc24 // copy acc to vreg[24]
v_accvgpr_read_b32 v[vgprValuC+57], acc25 // copy acc to vreg[25]
v_accvgpr_read_b32 v[vgprValuC+59], acc26 // copy acc to vreg[26]
v_accvgpr_read_b32 v[vgprValuC+61], acc27 // copy acc to vreg[27]
v_accvgpr_read_b32 v[vgprValuC+63], acc28 // copy acc to vreg[28]
v_accvgpr_read_b32 v[vgprValuC+65], acc29 // copy acc to vreg[29]
v_accvgpr_read_b32 v[vgprValuC+67], acc30 // copy acc to vreg[30]
v_accvgpr_read_b32 v[vgprValuC+69], acc31 // copy acc to vreg[31]
v_accvgpr_read_b32 v[vgprValuC+71], acc32 // copy acc to vreg[32]
v_accvgpr_read_b32 v[vgprValuC+73], acc33 // copy acc to vreg[33]
v_accvgpr_read_b32 v[vgprValuC+75], acc34 // copy acc to vreg[34]
v_accvgpr_read_b32 v[vgprValuC+77], acc35 // copy acc to vreg[35]
v_accvgpr_read_b32 v[vgprValuC+82], acc36 // copy acc to vreg[36]
v_accvgpr_read_b32 v[vgprValuC+84], acc37 // copy acc to vreg[37]
v_accvgpr_read_b32 v[vgprValuC+86], acc38 // copy acc to vreg[38]
v_accvgpr_read_b32 v[vgprValuC+88], acc39 // copy acc to vreg[39]
v_accvgpr_read_b32 v[vgprValuC+90], acc40 // copy acc to vreg[40]
v_accvgpr_read_b32 v[vgprValuC+92], acc41 // copy acc to vreg[41]
v_accvgpr_read_b32 v[vgprValuC+94], acc42 // copy acc to vreg[42]
v_accvgpr_read_b32 v[vgprValuC+96], acc43 // copy acc to vreg[43]
v_accvgpr_read_b32 v[vgprValuC+98], acc44 // copy acc to vreg[44]
v_accvgpr_read_b32 v[vgprValuC+100], acc45 // copy acc to vreg[45]
v_accvgpr_read_b32 v[vgprValuC+102], acc46 // copy acc to vreg[46]
v_accvgpr_read_b32 v[vgprValuC+104], acc47 // copy acc to vreg[47]
v_accvgpr_read_b32 v[vgprValuC+106], acc48 // copy acc to vreg[48]
v_accvgpr_read_b32 v[vgprValuC+108], acc49 // copy acc to vreg[49]
v_accvgpr_read_b32 v[vgprValuC+110], acc50 // copy acc to vreg[50]
v_accvgpr_read_b32 v[vgprValuC+112], acc51 // copy acc to vreg[51]
v_accvgpr_read_b32 v[vgprValuC+114], acc52 // copy acc to vreg[52]
v_accvgpr_read_b32 v[vgprValuC+116], acc53 // copy acc to vreg[53]
v_accvgpr_read_b32 v[vgprValuC+118], acc54 // copy acc to vreg[54]
v_accvgpr_read_b32 v[vgprValuC+120], acc55 // copy acc to vreg[55]
v_accvgpr_read_b32 v[vgprValuC+122], acc56 // copy acc to vreg[56]
v_accvgpr_read_b32 v[vgprValuC+124], acc57 // copy acc to vreg[57]
v_accvgpr_read_b32 v[vgprValuC+126], acc58 // copy acc to vreg[58]
v_accvgpr_read_b32 v[vgprValuC+128], acc59 // copy acc to vreg[59]
v_accvgpr_read_b32 v[vgprValuC+130], acc60 // copy acc to vreg[60]
v_accvgpr_read_b32 v[vgprValuC+132], acc61 // copy acc to vreg[61]
v_accvgpr_read_b32 v[vgprValuC+134], acc62 // copy acc to vreg[62]
v_accvgpr_read_b32 v[vgprValuC+136], acc63 // copy acc to vreg[63]
v_accvgpr_read_b32 v[vgprValuC+138], acc64 // copy acc to vreg[64]
v_accvgpr_read_b32 v[vgprValuC+140], acc65 // copy acc to vreg[65]
v_accvgpr_read_b32 v[vgprValuC+142], acc66 // copy acc to vreg[66]
v_accvgpr_read_b32 v[vgprValuC+144], acc67 // copy acc to vreg[67]
v_accvgpr_read_b32 v[vgprValuC+146], acc68 // copy acc to vreg[68]
v_accvgpr_read_b32 v[vgprValuC+148], acc69 // copy acc to vreg[69]
v_accvgpr_read_b32 v[vgprValuC+150], acc70 // copy acc to vreg[70]
v_accvgpr_read_b32 v[vgprValuC+152], acc71 // copy acc to vreg[71]
v_accvgpr_read_b32 v[vgprValuC+154], acc72 // copy acc to vreg[72]
v_accvgpr_read_b32 v[vgprValuC+156], acc73 // copy acc to vreg[73]
v_accvgpr_read_b32 v[vgprValuC+158], acc74 // copy acc to vreg[74]
v_accvgpr_read_b32 v[vgprValuC+160], acc75 // copy acc to vreg[75]
v_accvgpr_read_b32 v[vgprValuC+162], acc76 // copy acc to vreg[76]
v_accvgpr_read_b32 v[vgprValuC+164], acc77 // copy acc to vreg[77]
v_accvgpr_read_b32 v[vgprValuC+166], acc78 // copy acc to vreg[78]
v_accvgpr_read_b32 v[vgprValuC+168], acc79 // copy acc to vreg[79]
s_nop 1                                            // 2 wait states required before reading vgpr

/* rC *= alpha batchElements=[(0, 0, 0, 0), (0, 0, 0, 1), (0, 0, 0, 2), (0, 0, 0, 3), (0, 1, 0, 0), (0, 1, 0, 1), (0, 1, 0, 2), (0, 1, 0, 3), (0, 2, 0, 0), (0, 2, 0, 1), (0, 2, 0, 2), (0, 2, 0, 3), (0, 3, 0, 0), (0, 3, 0, 1), (0, 3, 0, 2), (0, 3, 0, 3), (0, 4, 0, 0), (0, 4, 0, 1), (0, 4, 0, 2), (0, 4, 0, 3), (0, 5, 0, 0), (0, 5, 0, 1), (0, 5, 0, 2), (0, 5, 0, 3), (0, 6, 0, 0), (0, 6, 0, 1), (0, 6, 0, 2), (0, 6, 0, 3), (0, 7, 0, 0), (0, 7, 0, 1), (0, 7, 0, 2), (0, 7, 0, 3), (0, 8, 0, 0), (0, 8, 0, 1), (0, 8, 0, 2), (0, 8, 0, 3), (0, 9, 0, 0), (0, 9, 0, 1), (0, 9, 0, 2), (0, 9, 0, 3), (0, 10, 0, 0), (0, 10, 0, 1), (0, 10, 0, 2), (0, 10, 0, 3), (0, 11, 0, 0), (0, 11, 0, 1), (0, 11, 0, 2), (0, 11, 0, 3), (0, 12, 0, 0), (0, 12, 0, 1), (0, 12, 0, 2), (0, 12, 0, 3), (0, 13, 0, 0), (0, 13, 0, 1), (0, 13, 0, 2), (0, 13, 0, 3), (0, 14, 0, 0), (0, 14, 0, 1), (0, 14, 0, 2), (0, 14, 0, 3), (0, 15, 0, 0), (0, 15, 0, 1), (0, 15, 0, 2), (0, 15, 0, 3), (0, 16, 0, 0), (0, 16, 0, 1), (0, 16, 0, 2), (0, 16, 0, 3), (0, 17, 0, 0), (0, 17, 0, 1), (0, 17, 0, 2), (0, 17, 0, 3), (0, 18, 0, 0), (0, 18, 0, 1), (0, 18, 0, 2), (0, 18, 0, 3), (0, 19, 0, 0), (0, 19, 0, 1), (0, 19, 0, 2), (0, 19, 0, 3)] */
v_mul_f32 v[vgprValuC+7], s[sgprAlpha], v[vgprValuC+7] // *= alpha
v_mul_f32 v[vgprValuC+9], s[sgprAlpha], v[vgprValuC+9] // *= alpha
	;; [unrolled: 1-line block ×80, first 2 shown]

/* apply mask, calc new C and issue writes */
v_cvt_f16_f32 v[vgprValuC+7], v[vgprValuC+7]       // convert C to fp16
_buffer_store_b16 v7, v6, s[sgprSrdD:sgprSrdD+3], 0, offen, offset:0 // store D
v_cvt_f16_f32 v[vgprValuC+9], v[vgprValuC+9]       // convert C to fp16
_buffer_store_b16 v9, v8, s[sgprSrdD:sgprSrdD+3], 0, offen, offset:0 // store D
v_cvt_f16_f32 v[vgprValuC+11], v[vgprValuC+11]     // convert C to fp16
_buffer_store_b16 v11, v10, s[sgprSrdD:sgprSrdD+3], 0, offen, offset:0 // store D
v_cvt_f16_f32 v[vgprValuC+13], v[vgprValuC+13]     // convert C to fp16
	;; [unrolled: 2-line block ×43, first 2 shown]
_buffer_store_b16 v98, v97, s[sgprSrdD:sgprSrdD+3], 0, offen, offset:0 // store D
v_cvt_f16_f32 v[vgprValuC+100], v[vgprValuC+100]   // convert C to fp16
_buffer_store_b16 v100, v99, s[sgprSrdD:sgprSrdD+3], 0, offen, offset:0 // store D
v_cvt_f16_f32 v[vgprValuC+102], v[vgprValuC+102]   // convert C to fp16
_buffer_store_b16 v102, v101, s[sgprSrdD:sgprSrdD+3], 0, offen, offset:0 // store D
v_cvt_f16_f32 v[vgprValuC+104], v[vgprValuC+104]   // convert C to fp16
_buffer_store_b16 v104, v103, s[sgprSrdD:sgprSrdD+3], 0, offen, offset:0 // store D
v_cvt_f16_f32 v[vgprValuC+106], v[vgprValuC+106]   // convert C to fp16
_buffer_store_b16 v106, v105, s[sgprSrdD:sgprSrdD+3], 0, offen, offset:0 // store D
v_cvt_f16_f32 v[vgprValuC+108], v[vgprValuC+108]   // convert C to fp16
_buffer_store_b16 v108, v107, s[sgprSrdD:sgprSrdD+3], 0, offen, offset:0 // store D
v_cvt_f16_f32 v[vgprValuC+110], v[vgprValuC+110]   // convert C to fp16
_buffer_store_b16 v110, v109, s[sgprSrdD:sgprSrdD+3], 0, offen, offset:0 // store D
v_cvt_f16_f32 v[vgprValuC+112], v[vgprValuC+112]   // convert C to fp16
_buffer_store_b16 v112, v111, s[sgprSrdD:sgprSrdD+3], 0, offen, offset:0 // store D
v_cvt_f16_f32 v[vgprValuC+114], v[vgprValuC+114]   // convert C to fp16
_buffer_store_b16 v114, v113, s[sgprSrdD:sgprSrdD+3], 0, offen, offset:0 // store D
v_cvt_f16_f32 v[vgprValuC+116], v[vgprValuC+116]   // convert C to fp16
_buffer_store_b16 v116, v115, s[sgprSrdD:sgprSrdD+3], 0, offen, offset:0 // store D
v_cvt_f16_f32 v[vgprValuC+118], v[vgprValuC+118]   // convert C to fp16
_buffer_store_b16 v118, v117, s[sgprSrdD:sgprSrdD+3], 0, offen, offset:0 // store D
v_cvt_f16_f32 v[vgprValuC+120], v[vgprValuC+120]   // convert C to fp16
_buffer_store_b16 v120, v119, s[sgprSrdD:sgprSrdD+3], 0, offen, offset:0 // store D
v_cvt_f16_f32 v[vgprValuC+122], v[vgprValuC+122]   // convert C to fp16
_buffer_store_b16 v122, v121, s[sgprSrdD:sgprSrdD+3], 0, offen, offset:0 // store D
v_cvt_f16_f32 v[vgprValuC+124], v[vgprValuC+124]   // convert C to fp16
_buffer_store_b16 v124, v123, s[sgprSrdD:sgprSrdD+3], 0, offen, offset:0 // store D
v_cvt_f16_f32 v[vgprValuC+126], v[vgprValuC+126]   // convert C to fp16
_buffer_store_b16 v126, v125, s[sgprSrdD:sgprSrdD+3], 0, offen, offset:0 // store D
v_cvt_f16_f32 v[vgprValuC+128], v[vgprValuC+128]   // convert C to fp16
_buffer_store_b16 v128, v127, s[sgprSrdD:sgprSrdD+3], 0, offen, offset:0 // store D
v_cvt_f16_f32 v[vgprValuC+130], v[vgprValuC+130]   // convert C to fp16
_buffer_store_b16 v130, v129, s[sgprSrdD:sgprSrdD+3], 0, offen, offset:0 // store D
v_cvt_f16_f32 v[vgprValuC+132], v[vgprValuC+132]   // convert C to fp16
_buffer_store_b16 v132, v131, s[sgprSrdD:sgprSrdD+3], 0, offen, offset:0 // store D
v_cvt_f16_f32 v[vgprValuC+134], v[vgprValuC+134]   // convert C to fp16
_buffer_store_b16 v134, v133, s[sgprSrdD:sgprSrdD+3], 0, offen, offset:0 // store D
v_cvt_f16_f32 v[vgprValuC+136], v[vgprValuC+136]   // convert C to fp16
_buffer_store_b16 v136, v135, s[sgprSrdD:sgprSrdD+3], 0, offen, offset:0 // store D
v_cvt_f16_f32 v[vgprValuC+138], v[vgprValuC+138]   // convert C to fp16
_buffer_store_b16 v138, v137, s[sgprSrdD:sgprSrdD+3], 0, offen, offset:0 // store D
v_cvt_f16_f32 v[vgprValuC+140], v[vgprValuC+140]   // convert C to fp16
_buffer_store_b16 v140, v139, s[sgprSrdD:sgprSrdD+3], 0, offen, offset:0 // store D
v_cvt_f16_f32 v[vgprValuC+142], v[vgprValuC+142]   // convert C to fp16
_buffer_store_b16 v142, v141, s[sgprSrdD:sgprSrdD+3], 0, offen, offset:0 // store D
v_cvt_f16_f32 v[vgprValuC+144], v[vgprValuC+144]   // convert C to fp16
_buffer_store_b16 v144, v143, s[sgprSrdD:sgprSrdD+3], 0, offen, offset:0 // store D
v_cvt_f16_f32 v[vgprValuC+146], v[vgprValuC+146]   // convert C to fp16
_buffer_store_b16 v146, v145, s[sgprSrdD:sgprSrdD+3], 0, offen, offset:0 // store D
v_cvt_f16_f32 v[vgprValuC+148], v[vgprValuC+148]   // convert C to fp16
_buffer_store_b16 v148, v147, s[sgprSrdD:sgprSrdD+3], 0, offen, offset:0 // store D
v_cvt_f16_f32 v[vgprValuC+150], v[vgprValuC+150]   // convert C to fp16
_buffer_store_b16 v150, v149, s[sgprSrdD:sgprSrdD+3], 0, offen, offset:0 // store D
v_cvt_f16_f32 v[vgprValuC+152], v[vgprValuC+152]   // convert C to fp16
_buffer_store_b16 v152, v151, s[sgprSrdD:sgprSrdD+3], 0, offen, offset:0 // store D
v_cvt_f16_f32 v[vgprValuC+154], v[vgprValuC+154]   // convert C to fp16
_buffer_store_b16 v154, v153, s[sgprSrdD:sgprSrdD+3], 0, offen, offset:0 // store D
v_cvt_f16_f32 v[vgprValuC+156], v[vgprValuC+156]   // convert C to fp16
_buffer_store_b16 v156, v155, s[sgprSrdD:sgprSrdD+3], 0, offen, offset:0 // store D
v_cvt_f16_f32 v[vgprValuC+158], v[vgprValuC+158]   // convert C to fp16
_buffer_store_b16 v158, v157, s[sgprSrdD:sgprSrdD+3], 0, offen, offset:0 // store D
v_cvt_f16_f32 v[vgprValuC+160], v[vgprValuC+160]   // convert C to fp16
_buffer_store_b16 v160, v159, s[sgprSrdD:sgprSrdD+3], 0, offen, offset:0 // store D
v_cvt_f16_f32 v[vgprValuC+162], v[vgprValuC+162]   // convert C to fp16
_buffer_store_b16 v162, v161, s[sgprSrdD:sgprSrdD+3], 0, offen, offset:0 // store D
v_cvt_f16_f32 v[vgprValuC+164], v[vgprValuC+164]   // convert C to fp16
_buffer_store_b16 v164, v163, s[sgprSrdD:sgprSrdD+3], 0, offen, offset:0 // store D
v_cvt_f16_f32 v[vgprValuC+166], v[vgprValuC+166]   // convert C to fp16
_buffer_store_b16 v166, v165, s[sgprSrdD:sgprSrdD+3], 0, offen, offset:0 // store D
v_cvt_f16_f32 v[vgprValuC+168], v[vgprValuC+168]   // convert C to fp16
_buffer_store_b16 v168, v167, s[sgprSrdD:sgprSrdD+3], 0, offen, offset:0 // store D
s_nop 0                                            // 1 wait state required when next inst writes vgprs held by previous dwordx4 store inst
s_branch label_GW_End_207                          // jump to end
GW_Beta_208:
s_mov_b32 s35, 0x0                                 // STATIC_DIV: divisior=160
s_mul_i32 s34, 0x333, s[sgprSizeI]                 // tmp1 = dividend * magic hi
s_lshl_b64 s[34:35], s[34:35], 0x10                // left shift 16 bits
s_mul_i32 s33, s[sgprSizeI], 0x3334                // tmp0 = dividend * magic lo
s_add_u32 s34, s33, s34                            // add lo
s_addc_u32 s35, s35, 0x0                           // add hi
s_lshr_b64 s[34:35], s[34:35], 0x21                // tmp1 = (dividend * magic) << shift
s_mov_b32 s33, s34                                 // quotient
s_mul_i32 s34, s33, 0xa0                           // quotient*divisor
s_sub_u32 s32, s[sgprSizeI], s34                   // rReg = dividend - quotient*divisor
s_add_u32 s33, -0x1, s[sgprNumWorkGroups0]         // 
s_cmp_ge_u32 s[sgprWorkGroup0], s33                // wg0 >= nwg0-1 ?
s_cselect_b32 s32, s32, 0                          // set rMT0
s_cmpk_gt_u32 s32, 0x0                             // rMT0 > 0
s_cbranch_scc1 GW_B1_E1_206                        // jump if edges required
s_and_b32 s32, 127, s[sgprSizeJ]                   // s32 = s[sgprSizeJ] % 128
s_add_u32 s33, -0x1, s[sgprNumWorkGroups1]         // 
s_cmp_ge_u32 s[sgprWorkGroup1], s33                // wg1 >= nwg1-1
s_cselect_b32 s32, s32, 0                          // set rMT1
s_cmpk_gt_u32 s32, 0x0                             // rMT1 > 0
s_cbranch_scc1 GW_B1_E1_206                        // jump if edges required
GW_B1_E0_203:

/* edge=0, allocate 2 sgpr. perBatchTmpS=2 perBatchMaskS=0 perElementMaskS=0 elementsPerBatch=38 */
/* optSingleColVgpr=1 optSharedColVgpr=0 optSGPRUsage=BufferLoad_Mask optSrdIncForRow=1 */

/******************************************/
/* Global Write Alpha Beta Batch #0 (d1,d0,vc1,vc0) = */
/*    (0,0,0,0:vw4); (0,1,0,0:vw4); (0,2,0,0:vw4); (0,3,0,0:vw4); (0,4,0,0:vw4); (0,5,0,0:vw4); (0,6,0,0:vw4); (0,7,0,0:vw4); (0,8,0,0:vw4); (0,9,0,0:vw4); (0,10,0,0:vw4); (0,11,0,0:vw4); (0,12,0,0:vw4); (0,13,0,0:vw4); (0,14,0,0:vw4); (0,15,0,0:vw4); (0,16,0,0:vw4); (0,17,0,0:vw4); (0,18,0,0:vw4); (0,19,0,0:vw4) */
/******************************************/

/* calc coords, apply mask, and issue loads (if necessary) */
/* (d1,vc1,d0,vc0)=(0,0,0,0) */
_v_add_lshl_u32 v7, v2, v0, 0x1                    // optSingleColVgpr scaleToBpe: sharedAddrVgpr <- cinRowPtr + coord0, scaled by BPE. BSHERE:coord0=0, coord0Vgpr=0
_buffer_load_b64 v[8:9], v7, s[sgprSrdC:sgprSrdC+3], 0, offen offset:0 // load C for beta calc
/* (d1,vc1,d0,vc0)=(0,0,1,0) */
_buffer_load_b64 v[10:11], v7, s[sgprSrdC:sgprSrdC+3], 0, offen offset:16 // load C for beta calc
/* (d1,vc1,d0,vc0)=(0,0,2,0) */
	;; [unrolled: 2-line block ×19, first 2 shown]
_buffer_load_b64 v[122:123], v7, s[sgprSrdC:sgprSrdC+3], 0, offen offset:304 // load C for beta calc
_v_add_lshl_u32 v6, v3, v0, 0x1                    // optSingleColVgpr scaleToBpe: sharedAddrVgpr <- cinRowPtr + coord0, scaled by BPE. BSHERE:coord0=0, coord0Vgpr=0
v_accvgpr_read_b32 v[vgprValuC+12], acc0 // copy acc to vreg[0]
v_accvgpr_read_b32 v[vgprValuC+13], acc1 // copy acc to vreg[1]
v_accvgpr_read_b32 v[vgprValuC+14], acc2 // copy acc to vreg[2]
v_accvgpr_read_b32 v[vgprValuC+15], acc3 // copy acc to vreg[3]
v_accvgpr_read_b32 v[vgprValuC+16], acc4 // copy acc to vreg[4]
v_accvgpr_read_b32 v[vgprValuC+17], acc5 // copy acc to vreg[5]
v_accvgpr_read_b32 v[vgprValuC+18], acc6 // copy acc to vreg[6]
v_accvgpr_read_b32 v[vgprValuC+19], acc7 // copy acc to vreg[7]
v_accvgpr_read_b32 v[vgprValuC+24], acc8 // copy acc to vreg[8]
v_accvgpr_read_b32 v[vgprValuC+25], acc9 // copy acc to vreg[9]
v_accvgpr_read_b32 v[vgprValuC+26], acc10 // copy acc to vreg[10]
v_accvgpr_read_b32 v[vgprValuC+27], acc11 // copy acc to vreg[11]
v_accvgpr_read_b32 v[vgprValuC+28], acc12 // copy acc to vreg[12]
v_accvgpr_read_b32 v[vgprValuC+29], acc13 // copy acc to vreg[13]
v_accvgpr_read_b32 v[vgprValuC+30], acc14 // copy acc to vreg[14]
v_accvgpr_read_b32 v[vgprValuC+31], acc15 // copy acc to vreg[15]
v_accvgpr_read_b32 v[vgprValuC+36], acc16 // copy acc to vreg[16]
v_accvgpr_read_b32 v[vgprValuC+37], acc17 // copy acc to vreg[17]
v_accvgpr_read_b32 v[vgprValuC+38], acc18 // copy acc to vreg[18]
v_accvgpr_read_b32 v[vgprValuC+39], acc19 // copy acc to vreg[19]
v_accvgpr_read_b32 v[vgprValuC+40], acc20 // copy acc to vreg[20]
v_accvgpr_read_b32 v[vgprValuC+41], acc21 // copy acc to vreg[21]
v_accvgpr_read_b32 v[vgprValuC+42], acc22 // copy acc to vreg[22]
v_accvgpr_read_b32 v[vgprValuC+43], acc23 // copy acc to vreg[23]
v_accvgpr_read_b32 v[vgprValuC+48], acc24 // copy acc to vreg[24]
v_accvgpr_read_b32 v[vgprValuC+49], acc25 // copy acc to vreg[25]
v_accvgpr_read_b32 v[vgprValuC+50], acc26 // copy acc to vreg[26]
v_accvgpr_read_b32 v[vgprValuC+51], acc27 // copy acc to vreg[27]
v_accvgpr_read_b32 v[vgprValuC+52], acc28 // copy acc to vreg[28]
v_accvgpr_read_b32 v[vgprValuC+53], acc29 // copy acc to vreg[29]
v_accvgpr_read_b32 v[vgprValuC+54], acc30 // copy acc to vreg[30]
v_accvgpr_read_b32 v[vgprValuC+55], acc31 // copy acc to vreg[31]
v_accvgpr_read_b32 v[vgprValuC+60], acc32 // copy acc to vreg[32]
v_accvgpr_read_b32 v[vgprValuC+61], acc33 // copy acc to vreg[33]
v_accvgpr_read_b32 v[vgprValuC+62], acc34 // copy acc to vreg[34]
v_accvgpr_read_b32 v[vgprValuC+63], acc35 // copy acc to vreg[35]
v_accvgpr_read_b32 v[vgprValuC+64], acc36 // copy acc to vreg[36]
v_accvgpr_read_b32 v[vgprValuC+65], acc37 // copy acc to vreg[37]
v_accvgpr_read_b32 v[vgprValuC+66], acc38 // copy acc to vreg[38]
v_accvgpr_read_b32 v[vgprValuC+67], acc39 // copy acc to vreg[39]
v_accvgpr_read_b32 v[vgprValuC+72], acc40 // copy acc to vreg[40]
v_accvgpr_read_b32 v[vgprValuC+73], acc41 // copy acc to vreg[41]
v_accvgpr_read_b32 v[vgprValuC+74], acc42 // copy acc to vreg[42]
v_accvgpr_read_b32 v[vgprValuC+75], acc43 // copy acc to vreg[43]
v_accvgpr_read_b32 v[vgprValuC+84], acc44 // copy acc to vreg[44]
v_accvgpr_read_b32 v[vgprValuC+85], acc45 // copy acc to vreg[45]
v_accvgpr_read_b32 v[vgprValuC+86], acc46 // copy acc to vreg[46]
v_accvgpr_read_b32 v[vgprValuC+87], acc47 // copy acc to vreg[47]
v_accvgpr_read_b32 v[vgprValuC+88], acc48 // copy acc to vreg[48]
v_accvgpr_read_b32 v[vgprValuC+89], acc49 // copy acc to vreg[49]
v_accvgpr_read_b32 v[vgprValuC+90], acc50 // copy acc to vreg[50]
v_accvgpr_read_b32 v[vgprValuC+91], acc51 // copy acc to vreg[51]
v_accvgpr_read_b32 v[vgprValuC+92], acc52 // copy acc to vreg[52]
v_accvgpr_read_b32 v[vgprValuC+93], acc53 // copy acc to vreg[53]
v_accvgpr_read_b32 v[vgprValuC+94], acc54 // copy acc to vreg[54]
v_accvgpr_read_b32 v[vgprValuC+95], acc55 // copy acc to vreg[55]
v_accvgpr_read_b32 v[vgprValuC+100], acc56 // copy acc to vreg[56]
v_accvgpr_read_b32 v[vgprValuC+101], acc57 // copy acc to vreg[57]
v_accvgpr_read_b32 v[vgprValuC+102], acc58 // copy acc to vreg[58]
v_accvgpr_read_b32 v[vgprValuC+103], acc59 // copy acc to vreg[59]
v_accvgpr_read_b32 v[vgprValuC+104], acc60 // copy acc to vreg[60]
v_accvgpr_read_b32 v[vgprValuC+105], acc61 // copy acc to vreg[61]
v_accvgpr_read_b32 v[vgprValuC+106], acc62 // copy acc to vreg[62]
v_accvgpr_read_b32 v[vgprValuC+107], acc63 // copy acc to vreg[63]
v_accvgpr_read_b32 v[vgprValuC+112], acc64 // copy acc to vreg[64]
v_accvgpr_read_b32 v[vgprValuC+113], acc65 // copy acc to vreg[65]
v_accvgpr_read_b32 v[vgprValuC+114], acc66 // copy acc to vreg[66]
v_accvgpr_read_b32 v[vgprValuC+115], acc67 // copy acc to vreg[67]
v_accvgpr_read_b32 v[vgprValuC+116], acc68 // copy acc to vreg[68]
v_accvgpr_read_b32 v[vgprValuC+117], acc69 // copy acc to vreg[69]
v_accvgpr_read_b32 v[vgprValuC+118], acc70 // copy acc to vreg[70]
v_accvgpr_read_b32 v[vgprValuC+119], acc71 // copy acc to vreg[71]
v_accvgpr_read_b32 v[vgprValuC+124], acc72 // copy acc to vreg[72]
v_accvgpr_read_b32 v[vgprValuC+125], acc73 // copy acc to vreg[73]
v_accvgpr_read_b32 v[vgprValuC+126], acc74 // copy acc to vreg[74]
v_accvgpr_read_b32 v[vgprValuC+127], acc75 // copy acc to vreg[75]
v_accvgpr_read_b32 v[vgprValuC+128], acc76 // copy acc to vreg[76]
v_accvgpr_read_b32 v[vgprValuC+129], acc77 // copy acc to vreg[77]
v_accvgpr_read_b32 v[vgprValuC+130], acc78 // copy acc to vreg[78]
v_accvgpr_read_b32 v[vgprValuC+131], acc79 // copy acc to vreg[79]
s_nop 1                                            // 2 wait states required before reading vgpr

/* rC *= alpha batchElements=[(0, 0, 0, 0), (0, 1, 0, 0), (0, 2, 0, 0), (0, 3, 0, 0), (0, 4, 0, 0), (0, 5, 0, 0), (0, 6, 0, 0), (0, 7, 0, 0), (0, 8, 0, 0), (0, 9, 0, 0), (0, 10, 0, 0), (0, 11, 0, 0), (0, 12, 0, 0), (0, 13, 0, 0), (0, 14, 0, 0), (0, 15, 0, 0), (0, 16, 0, 0), (0, 17, 0, 0), (0, 18, 0, 0), (0, 19, 0, 0)] */
v_mul_f32 v[vgprValuC+12], s[sgprAlpha], v[vgprValuC+12] // *= alpha
v_mul_f32 v[vgprValuC+13], s[sgprAlpha], v[vgprValuC+13] // *= alpha
	;; [unrolled: 1-line block ×80, first 2 shown]

/* apply mask, calc new C and issue writes */

s_waitcnt vmcnt(19)                                // wait C (interleaved) 19 = 20 - 0 + 0 - 1
v_fma_mix_f32 v[vgprValuC+12], s[sgprBeta], v8, v[vgprValuC+12], op_sel:[0,0,0] op_sel_hi:[0,1,0] // //C*=beta
v_fma_mix_f32 v[vgprValuC+13], s[sgprBeta], v8, v[vgprValuC+13], op_sel:[0,1,0] op_sel_hi:[0,1,0] // //C*=beta
v_fma_mix_f32 v[vgprValuC+14], s[sgprBeta], v9, v[vgprValuC+14], op_sel:[0,0,0] op_sel_hi:[0,1,0] // //C*=beta
v_fma_mix_f32 v[vgprValuC+15], s[sgprBeta], v9, v[vgprValuC+15], op_sel:[0,1,0] op_sel_hi:[0,1,0] // //C*=beta
v_cvt_f16_f32 v[vgprValuC+12], v[vgprValuC+12]     // convert C to fp16
v_cvt_f16_f32 v[vgprValuC+13], v[vgprValuC+13]     // convert C to fp16
v_pack_b32_f16 v12, v[vgprValuC+12], v[vgprValuC+13] // Pack with neighbor
v_cvt_f16_f32 v[vgprValuC+14], v[vgprValuC+14]     // convert C to fp16
v_cvt_f16_f32 v[vgprValuC+15], v[vgprValuC+15]     // convert C to fp16
v_pack_b32_f16 v13, v[vgprValuC+14], v[vgprValuC+15] // Pack with neighbor
_buffer_store_b64 v[12:13], v6, s[sgprSrdD:sgprSrdD+3], 0, offen, offset:0 // store D

s_waitcnt vmcnt(19)                                // wait C (interleaved) 19 = 20 - 1 + 1 - 1
v_fma_mix_f32 v[vgprValuC+16], s[sgprBeta], v10, v[vgprValuC+16], op_sel:[0,0,0] op_sel_hi:[0,1,0] // //C*=beta
v_fma_mix_f32 v[vgprValuC+17], s[sgprBeta], v10, v[vgprValuC+17], op_sel:[0,1,0] op_sel_hi:[0,1,0] // //C*=beta
v_fma_mix_f32 v[vgprValuC+18], s[sgprBeta], v11, v[vgprValuC+18], op_sel:[0,0,0] op_sel_hi:[0,1,0] // //C*=beta
v_fma_mix_f32 v[vgprValuC+19], s[sgprBeta], v11, v[vgprValuC+19], op_sel:[0,1,0] op_sel_hi:[0,1,0] // //C*=beta
v_cvt_f16_f32 v[vgprValuC+16], v[vgprValuC+16]     // convert C to fp16
v_cvt_f16_f32 v[vgprValuC+17], v[vgprValuC+17]     // convert C to fp16
v_pack_b32_f16 v16, v[vgprValuC+16], v[vgprValuC+17] // Pack with neighbor
v_cvt_f16_f32 v[vgprValuC+18], v[vgprValuC+18]     // convert C to fp16
v_cvt_f16_f32 v[vgprValuC+19], v[vgprValuC+19]     // convert C to fp16
v_pack_b32_f16 v17, v[vgprValuC+18], v[vgprValuC+19] // Pack with neighbor
_buffer_store_b64 v[16:17], v6, s[sgprSrdD:sgprSrdD+3], 0, offen, offset:16 // store D
	;; [unrolled: 13-line block ×14, first 2 shown]

s_waitcnt vmcnt(19)                                // wait C (interleaved) 19 = 20 - 14 + 14 - 1
v_fma_mix_f32 v[vgprValuC+100], s[sgprBeta], v96, v[vgprValuC+100], op_sel:[0,0,0] op_sel_hi:[0,1,0] // //C*=beta
v_fma_mix_f32 v[vgprValuC+101], s[sgprBeta], v96, v[vgprValuC+101], op_sel:[0,1,0] op_sel_hi:[0,1,0] // //C*=beta
v_fma_mix_f32 v[vgprValuC+102], s[sgprBeta], v97, v[vgprValuC+102], op_sel:[0,0,0] op_sel_hi:[0,1,0] // //C*=beta
v_fma_mix_f32 v[vgprValuC+103], s[sgprBeta], v97, v[vgprValuC+103], op_sel:[0,1,0] op_sel_hi:[0,1,0] // //C*=beta
v_cvt_f16_f32 v[vgprValuC+100], v[vgprValuC+100]   // convert C to fp16
v_cvt_f16_f32 v[vgprValuC+101], v[vgprValuC+101]   // convert C to fp16
v_pack_b32_f16 v100, v[vgprValuC+100], v[vgprValuC+101] // Pack with neighbor
v_cvt_f16_f32 v[vgprValuC+102], v[vgprValuC+102]   // convert C to fp16
v_cvt_f16_f32 v[vgprValuC+103], v[vgprValuC+103]   // convert C to fp16
v_pack_b32_f16 v101, v[vgprValuC+102], v[vgprValuC+103] // Pack with neighbor
_buffer_store_b64 v[100:101], v6, s[sgprSrdD:sgprSrdD+3], 0, offen, offset:224 // store D

s_waitcnt vmcnt(19)                                // wait C (interleaved) 19 = 20 - 15 + 15 - 1
v_fma_mix_f32 v[vgprValuC+104], s[sgprBeta], v98, v[vgprValuC+104], op_sel:[0,0,0] op_sel_hi:[0,1,0] // //C*=beta
v_fma_mix_f32 v[vgprValuC+105], s[sgprBeta], v98, v[vgprValuC+105], op_sel:[0,1,0] op_sel_hi:[0,1,0] // //C*=beta
v_fma_mix_f32 v[vgprValuC+106], s[sgprBeta], v99, v[vgprValuC+106], op_sel:[0,0,0] op_sel_hi:[0,1,0] // //C*=beta
v_fma_mix_f32 v[vgprValuC+107], s[sgprBeta], v99, v[vgprValuC+107], op_sel:[0,1,0] op_sel_hi:[0,1,0] // //C*=beta
v_cvt_f16_f32 v[vgprValuC+104], v[vgprValuC+104]   // convert C to fp16
v_cvt_f16_f32 v[vgprValuC+105], v[vgprValuC+105]   // convert C to fp16
v_pack_b32_f16 v104, v[vgprValuC+104], v[vgprValuC+105] // Pack with neighbor
v_cvt_f16_f32 v[vgprValuC+106], v[vgprValuC+106]   // convert C to fp16
v_cvt_f16_f32 v[vgprValuC+107], v[vgprValuC+107]   // convert C to fp16
v_pack_b32_f16 v105, v[vgprValuC+106], v[vgprValuC+107] // Pack with neighbor
_buffer_store_b64 v[104:105], v6, s[sgprSrdD:sgprSrdD+3], 0, offen, offset:240 // store D
	;; [unrolled: 13-line block ×6, first 2 shown]
s_nop 0                                            // 1 wait state required when next inst writes vgprs held by previous dwordx4 store inst
s_branch label_GW_End_207                          // jump to end
GW_B1_E1_206:

/* edge=1, allocate 6 sgpr. perBatchTmpS=4 perBatchMaskS=2 perElementMaskS=0 elementsPerBatch=82 */
/* optSingleColVgpr=0 optSharedColVgpr=0 optSGPRUsage=BufferLoad_Edge_Mask optSrdIncForRow=0 */

/******************************************/
/* Global Write Alpha Beta Edge Batch #0 (d1,d0,vc1,vc0) = */
/*    (0,0,0,0:vw1); (0,0,0,1:vw1); (0,0,0,2:vw1); (0,0,0,3:vw1); (0,1,0,0:vw1); (0,1,0,1:vw1); (0,1,0,2:vw1); (0,1,0,3:vw1); (0,2,0,0:vw1); (0,2,0,1:vw1); (0,2,0,2:vw1); (0,2,0,3:vw1); (0,3,0,0:vw1); (0,3,0,1:vw1); (0,3,0,2:vw1); (0,3,0,3:vw1); (0,4,0,0:vw1); (0,4,0,1:vw1); (0,4,0,2:vw1); (0,4,0,3:vw1); (0,5,0,0:vw1); (0,5,0,1:vw1); (0,5,0,2:vw1); (0,5,0,3:vw1); (0,6,0,0:vw1); (0,6,0,1:vw1); (0,6,0,2:vw1); (0,6,0,3:vw1); (0,7,0,0:vw1); (0,7,0,1:vw1); (0,7,0,2:vw1); (0,7,0,3:vw1); (0,8,0,0:vw1); (0,8,0,1:vw1); (0,8,0,2:vw1); (0,8,0,3:vw1); (0,9,0,0:vw1); (0,9,0,1:vw1); (0,9,0,2:vw1); (0,9,0,3:vw1); (0,10,0,0:vw1); (0,10,0,1:vw1); (0,10,0,2:vw1); (0,10,0,3:vw1); (0,11,0,0:vw1); (0,11,0,1:vw1); (0,11,0,2:vw1); (0,11,0,3:vw1); (0,12,0,0:vw1); (0,12,0,1:vw1); (0,12,0,2:vw1); (0,12,0,3:vw1); (0,13,0,0:vw1); (0,13,0,1:vw1); (0,13,0,2:vw1); (0,13,0,3:vw1); (0,14,0,0:vw1); (0,14,0,1:vw1); (0,14,0,2:vw1); (0,14,0,3:vw1); (0,15,0,0:vw1); (0,15,0,1:vw1); (0,15,0,2:vw1); (0,15,0,3:vw1); (0,16,0,0:vw1); (0,16,0,1:vw1); (0,16,0,2:vw1); (0,16,0,3:vw1); (0,17,0,0:vw1); (0,17,0,1:vw1); (0,17,0,2:vw1); (0,17,0,3:vw1); (0,18,0,0:vw1); (0,18,0,1:vw1); (0,18,0,2:vw1); (0,18,0,3:vw1); (0,19,0,0:vw1); (0,19,0,1:vw1); (0,19,0,2:vw1); (0,19,0,3:vw1) */
/******************************************/

/* calc coords, apply mask, and issue loads (if necessary) */
/* (d1,vc1,d0,vc0)=(0,0,0,0) */
v_cmp_lt_u32 s[52:53], v0, s[sgprSizeI]            // coord0 < size0
v_cmp_lt_u32 s[56:57], v1, s[sgprSizeJ]            // coord1 < size1
s_and_b64 s[56:57], s[52:53], s[56:57]             // in0 && in1
_v_add_lshl_u32 v6, v2, v0, 0x1                    // scaleToBpe: accumulate d0 lower and *= bpe into Cin addr
v_cndmask_b32 v6, -1, v6, s[56:57]                 // LDC clip if OOB. offset
_buffer_load_d16_b16 v7, v6, s[sgprSrdC:sgprSrdC+3], 0, offen offset:0 // load C for beta calc
_v_add_lshl_u32 v6, v3, v0, 0x1                    // scaleToBpe: accumulate d0 lower and *= bpe into Cin addr
v_cndmask_b32 v6, -1, v6, s[56:57]                 // LDD clip if OOB. offset
/* (d1,vc1,d0,vc0)=(0,0,0,1) */
_v_add_co_u32 v4, vcc, v0, 1                       // coord0.1: coord0 += d0*sg0*VW + vc0
v_cmp_lt_u32 s[52:53], v4, s[sgprSizeI]            // coord0 < size0
v_cmp_lt_u32 s[56:57], v1, s[sgprSizeJ]            // coord1 < size1
s_and_b64 s[56:57], s[52:53], s[56:57]             // in0 && in1
_v_add_lshl_u32 v9, v2, v4, 0x1                    // scaleToBpe: accumulate d0 lower and *= bpe into Cin addr
v_cndmask_b32 v9, -1, v9, s[56:57]                 // LDC clip if OOB. offset
_buffer_load_d16_hi_b16 v10, v9, s[sgprSrdC:sgprSrdC+3], 0, offen offset:0 // load C for beta calc
_v_add_lshl_u32 v9, v3, v4, 0x1                    // scaleToBpe: accumulate d0 lower and *= bpe into Cin addr
v_cndmask_b32 v9, -1, v9, s[56:57]                 // LDD clip if OOB. offset
/* (d1,vc1,d0,vc0)=(0,0,0,2) */
_v_add_co_u32 v4, vcc, v0, 2                       // coord0.1: coord0 += d0*sg0*VW + vc0
v_cmp_lt_u32 s[52:53], v4, s[sgprSizeI]            // coord0 < size0
v_cmp_lt_u32 s[56:57], v1, s[sgprSizeJ]            // coord1 < size1
s_and_b64 s[56:57], s[52:53], s[56:57]             // in0 && in1
_v_add_lshl_u32 v12, v2, v4, 0x1                   // scaleToBpe: accumulate d0 lower and *= bpe into Cin addr
v_cndmask_b32 v12, -1, v12, s[56:57]               // LDC clip if OOB. offset
_buffer_load_d16_b16 v13, v12, s[sgprSrdC:sgprSrdC+3], 0, offen offset:0 // load C for beta calc
_v_add_lshl_u32 v12, v3, v4, 0x1                   // scaleToBpe: accumulate d0 lower and *= bpe into Cin addr
v_cndmask_b32 v12, -1, v12, s[56:57]               // LDD clip if OOB. offset
/* (d1,vc1,d0,vc0)=(0,0,0,3) */
_v_add_co_u32 v4, vcc, v0, 3                       // coord0.1: coord0 += d0*sg0*VW + vc0
v_cmp_lt_u32 s[52:53], v4, s[sgprSizeI]            // coord0 < size0
v_cmp_lt_u32 s[56:57], v1, s[sgprSizeJ]            // coord1 < size1
s_and_b64 s[56:57], s[52:53], s[56:57]             // in0 && in1
_v_add_lshl_u32 v15, v2, v4, 0x1                   // scaleToBpe: accumulate d0 lower and *= bpe into Cin addr
v_cndmask_b32 v15, -1, v15, s[56:57]               // LDC clip if OOB. offset
_buffer_load_d16_hi_b16 v16, v15, s[sgprSrdC:sgprSrdC+3], 0, offen offset:0 // load C for beta calc
_v_add_lshl_u32 v15, v3, v4, 0x1                   // scaleToBpe: accumulate d0 lower and *= bpe into Cin addr
v_cndmask_b32 v15, -1, v15, s[56:57]               // LDD clip if OOB. offset
/* (d1,vc1,d0,vc0)=(0,0,1,0) */
_v_add_co_u32 v4, vcc, v0, 8                       // coord0.1: coord0 += d0*sg0*VW + vc0
v_cmp_lt_u32 s[52:53], v4, s[sgprSizeI]            // coord0 < size0
v_cmp_lt_u32 s[56:57], v1, s[sgprSizeJ]            // coord1 < size1
s_and_b64 s[56:57], s[52:53], s[56:57]             // in0 && in1
_v_add_lshl_u32 v18, v2, v4, 0x1                   // scaleToBpe: accumulate d0 lower and *= bpe into Cin addr
v_cndmask_b32 v18, -1, v18, s[56:57]               // LDC clip if OOB. offset
_buffer_load_d16_b16 v19, v18, s[sgprSrdC:sgprSrdC+3], 0, offen offset:0 // load C for beta calc
_v_add_lshl_u32 v18, v3, v4, 0x1                   // scaleToBpe: accumulate d0 lower and *= bpe into Cin addr
v_cndmask_b32 v18, -1, v18, s[56:57]               // LDD clip if OOB. offset
/* (d1,vc1,d0,vc0)=(0,0,1,1) */
_v_add_co_u32 v4, vcc, v0, 9                       // coord0.1: coord0 += d0*sg0*VW + vc0
v_cmp_lt_u32 s[52:53], v4, s[sgprSizeI]            // coord0 < size0
v_cmp_lt_u32 s[56:57], v1, s[sgprSizeJ]            // coord1 < size1
s_and_b64 s[56:57], s[52:53], s[56:57]             // in0 && in1
_v_add_lshl_u32 v21, v2, v4, 0x1                   // scaleToBpe: accumulate d0 lower and *= bpe into Cin addr
v_cndmask_b32 v21, -1, v21, s[56:57]               // LDC clip if OOB. offset
_buffer_load_d16_hi_b16 v22, v21, s[sgprSrdC:sgprSrdC+3], 0, offen offset:0 // load C for beta calc
_v_add_lshl_u32 v21, v3, v4, 0x1                   // scaleToBpe: accumulate d0 lower and *= bpe into Cin addr
v_cndmask_b32 v21, -1, v21, s[56:57]               // LDD clip if OOB. offset
/* (d1,vc1,d0,vc0)=(0,0,1,2) */
_v_add_co_u32 v4, vcc, v0, 10                      // coord0.1: coord0 += d0*sg0*VW + vc0
v_cmp_lt_u32 s[52:53], v4, s[sgprSizeI]            // coord0 < size0
v_cmp_lt_u32 s[56:57], v1, s[sgprSizeJ]            // coord1 < size1
s_and_b64 s[56:57], s[52:53], s[56:57]             // in0 && in1
_v_add_lshl_u32 v24, v2, v4, 0x1                   // scaleToBpe: accumulate d0 lower and *= bpe into Cin addr
v_cndmask_b32 v24, -1, v24, s[56:57]               // LDC clip if OOB. offset
_buffer_load_d16_b16 v25, v24, s[sgprSrdC:sgprSrdC+3], 0, offen offset:0 // load C for beta calc
_v_add_lshl_u32 v24, v3, v4, 0x1                   // scaleToBpe: accumulate d0 lower and *= bpe into Cin addr
v_cndmask_b32 v24, -1, v24, s[56:57]               // LDD clip if OOB. offset
/* (d1,vc1,d0,vc0)=(0,0,1,3) */
_v_add_co_u32 v4, vcc, v0, 11                      // coord0.1: coord0 += d0*sg0*VW + vc0
v_cmp_lt_u32 s[52:53], v4, s[sgprSizeI]            // coord0 < size0
v_cmp_lt_u32 s[56:57], v1, s[sgprSizeJ]            // coord1 < size1
s_and_b64 s[56:57], s[52:53], s[56:57]             // in0 && in1
_v_add_lshl_u32 v27, v2, v4, 0x1                   // scaleToBpe: accumulate d0 lower and *= bpe into Cin addr
v_cndmask_b32 v27, -1, v27, s[56:57]               // LDC clip if OOB. offset
_buffer_load_d16_hi_b16 v28, v27, s[sgprSrdC:sgprSrdC+3], 0, offen offset:0 // load C for beta calc
_v_add_lshl_u32 v27, v3, v4, 0x1                   // scaleToBpe: accumulate d0 lower and *= bpe into Cin addr
v_cndmask_b32 v27, -1, v27, s[56:57]               // LDD clip if OOB. offset
/* (d1,vc1,d0,vc0)=(0,0,2,0) */
_v_add_co_u32 v4, vcc, v0, 16                      // coord0.1: coord0 += d0*sg0*VW + vc0
v_cmp_lt_u32 s[52:53], v4, s[sgprSizeI]            // coord0 < size0
v_cmp_lt_u32 s[56:57], v1, s[sgprSizeJ]            // coord1 < size1
s_and_b64 s[56:57], s[52:53], s[56:57]             // in0 && in1
_v_add_lshl_u32 v30, v2, v4, 0x1                   // scaleToBpe: accumulate d0 lower and *= bpe into Cin addr
v_cndmask_b32 v30, -1, v30, s[56:57]               // LDC clip if OOB. offset
_buffer_load_d16_b16 v31, v30, s[sgprSrdC:sgprSrdC+3], 0, offen offset:0 // load C for beta calc
_v_add_lshl_u32 v30, v3, v4, 0x1                   // scaleToBpe: accumulate d0 lower and *= bpe into Cin addr
v_cndmask_b32 v30, -1, v30, s[56:57]               // LDD clip if OOB. offset
/* (d1,vc1,d0,vc0)=(0,0,2,1) */
_v_add_co_u32 v4, vcc, v0, 17                      // coord0.1: coord0 += d0*sg0*VW + vc0
	;; [unrolled: 20-line block ×13, first 2 shown]
v_cmp_lt_u32 s[52:53], v4, s[sgprSizeI]            // coord0 < size0
v_cmp_lt_u32 s[56:57], v1, s[sgprSizeJ]            // coord1 < size1
s_and_b64 s[56:57], s[52:53], s[56:57]             // in0 && in1
_v_add_lshl_u32 v102, v2, v4, 0x1                  // scaleToBpe: accumulate d0 lower and *= bpe into Cin addr
v_cndmask_b32 v102, -1, v102, s[56:57]             // LDC clip if OOB. offset
_buffer_load_d16_hi_b16 v103, v102, s[sgprSrdC:sgprSrdC+3], 0, offen offset:0 // load C for beta calc
_v_add_lshl_u32 v102, v3, v4, 0x1                  // scaleToBpe: accumulate d0 lower and *= bpe into Cin addr
v_cndmask_b32 v102, -1, v102, s[56:57]             // LDD clip if OOB. offset
/* (d1,vc1,d0,vc0)=(0,0,8,0) */
_v_add_co_u32 v4, vcc, v0, 64                      // coord0.1: coord0 += d0*sg0*VW + vc0
v_cmp_lt_u32 s[52:53], v4, s[sgprSizeI]            // coord0 < size0
v_cmp_lt_u32 s[56:57], v1, s[sgprSizeJ]            // coord1 < size1
s_and_b64 s[56:57], s[52:53], s[56:57]             // in0 && in1
_v_add_lshl_u32 v105, v2, v4, 0x1                  // scaleToBpe: accumulate d0 lower and *= bpe into Cin addr
v_cndmask_b32 v105, -1, v105, s[56:57]             // LDC clip if OOB. offset
_buffer_load_d16_b16 v106, v105, s[sgprSrdC:sgprSrdC+3], 0, offen offset:0 // load C for beta calc
_v_add_lshl_u32 v105, v3, v4, 0x1                  // scaleToBpe: accumulate d0 lower and *= bpe into Cin addr
v_cndmask_b32 v105, -1, v105, s[56:57]             // LDD clip if OOB. offset
/* (d1,vc1,d0,vc0)=(0,0,8,1) */
s_mov_b32 s52, 65                                  // coordOffset0 d0=8 vc0=1
_v_add_co_u32 v4, vcc, v0, s52                     // coord0.2: coord0 += d0*sg0*VW + vc0
v_cmp_lt_u32 s[52:53], v4, s[sgprSizeI]            // coord0 < size0
v_cmp_lt_u32 s[56:57], v1, s[sgprSizeJ]            // coord1 < size1
s_and_b64 s[56:57], s[52:53], s[56:57]             // in0 && in1
_v_add_lshl_u32 v108, v2, v4, 0x1                  // scaleToBpe: accumulate d0 lower and *= bpe into Cin addr
v_cndmask_b32 v108, -1, v108, s[56:57]             // LDC clip if OOB. offset
_buffer_load_d16_hi_b16 v109, v108, s[sgprSrdC:sgprSrdC+3], 0, offen offset:0 // load C for beta calc
_v_add_lshl_u32 v108, v3, v4, 0x1                  // scaleToBpe: accumulate d0 lower and *= bpe into Cin addr
v_cndmask_b32 v108, -1, v108, s[56:57]             // LDD clip if OOB. offset
/* (d1,vc1,d0,vc0)=(0,0,8,2) */
s_mov_b32 s52, 66                                  // coordOffset0 d0=8 vc0=2
_v_add_co_u32 v4, vcc, v0, s52                     // coord0.2: coord0 += d0*sg0*VW + vc0
v_cmp_lt_u32 s[52:53], v4, s[sgprSizeI]            // coord0 < size0
v_cmp_lt_u32 s[56:57], v1, s[sgprSizeJ]            // coord1 < size1
s_and_b64 s[56:57], s[52:53], s[56:57]             // in0 && in1
_v_add_lshl_u32 v111, v2, v4, 0x1                  // scaleToBpe: accumulate d0 lower and *= bpe into Cin addr
v_cndmask_b32 v111, -1, v111, s[56:57]             // LDC clip if OOB. offset
_buffer_load_d16_b16 v112, v111, s[sgprSrdC:sgprSrdC+3], 0, offen offset:0 // load C for beta calc
_v_add_lshl_u32 v111, v3, v4, 0x1                  // scaleToBpe: accumulate d0 lower and *= bpe into Cin addr
v_cndmask_b32 v111, -1, v111, s[56:57]             // LDD clip if OOB. offset
/* (d1,vc1,d0,vc0)=(0,0,8,3) */
s_mov_b32 s52, 67                                  // coordOffset0 d0=8 vc0=3
_v_add_co_u32 v4, vcc, v0, s52                     // coord0.2: coord0 += d0*sg0*VW + vc0
v_cmp_lt_u32 s[52:53], v4, s[sgprSizeI]            // coord0 < size0
v_cmp_lt_u32 s[56:57], v1, s[sgprSizeJ]            // coord1 < size1
s_and_b64 s[56:57], s[52:53], s[56:57]             // in0 && in1
_v_add_lshl_u32 v114, v2, v4, 0x1                  // scaleToBpe: accumulate d0 lower and *= bpe into Cin addr
v_cndmask_b32 v114, -1, v114, s[56:57]             // LDC clip if OOB. offset
_buffer_load_d16_hi_b16 v115, v114, s[sgprSrdC:sgprSrdC+3], 0, offen offset:0 // load C for beta calc
_v_add_lshl_u32 v114, v3, v4, 0x1                  // scaleToBpe: accumulate d0 lower and *= bpe into Cin addr
v_cndmask_b32 v114, -1, v114, s[56:57]             // LDD clip if OOB. offset
/* (d1,vc1,d0,vc0)=(0,0,9,0) */
s_mov_b32 s52, 72                                  // coordOffset0 d0=9 vc0=0
_v_add_co_u32 v4, vcc, v0, s52                     // coord0.2: coord0 += d0*sg0*VW + vc0
v_cmp_lt_u32 s[52:53], v4, s[sgprSizeI]            // coord0 < size0
v_cmp_lt_u32 s[56:57], v1, s[sgprSizeJ]            // coord1 < size1
s_and_b64 s[56:57], s[52:53], s[56:57]             // in0 && in1
_v_add_lshl_u32 v117, v2, v4, 0x1                  // scaleToBpe: accumulate d0 lower and *= bpe into Cin addr
v_cndmask_b32 v117, -1, v117, s[56:57]             // LDC clip if OOB. offset
_buffer_load_d16_b16 v118, v117, s[sgprSrdC:sgprSrdC+3], 0, offen offset:0 // load C for beta calc
_v_add_lshl_u32 v117, v3, v4, 0x1                  // scaleToBpe: accumulate d0 lower and *= bpe into Cin addr
v_cndmask_b32 v117, -1, v117, s[56:57]             // LDD clip if OOB. offset
/* (d1,vc1,d0,vc0)=(0,0,9,1) */
s_mov_b32 s52, 73                                  // coordOffset0 d0=9 vc0=1
_v_add_co_u32 v4, vcc, v0, s52                     // coord0.2: coord0 += d0*sg0*VW + vc0
v_cmp_lt_u32 s[52:53], v4, s[sgprSizeI]            // coord0 < size0
v_cmp_lt_u32 s[56:57], v1, s[sgprSizeJ]            // coord1 < size1
s_and_b64 s[56:57], s[52:53], s[56:57]             // in0 && in1
_v_add_lshl_u32 v120, v2, v4, 0x1                  // scaleToBpe: accumulate d0 lower and *= bpe into Cin addr
v_cndmask_b32 v120, -1, v120, s[56:57]             // LDC clip if OOB. offset
_buffer_load_d16_hi_b16 v121, v120, s[sgprSrdC:sgprSrdC+3], 0, offen offset:0 // load C for beta calc
_v_add_lshl_u32 v120, v3, v4, 0x1                  // scaleToBpe: accumulate d0 lower and *= bpe into Cin addr
v_cndmask_b32 v120, -1, v120, s[56:57]             // LDD clip if OOB. offset
/* (d1,vc1,d0,vc0)=(0,0,9,2) */
s_mov_b32 s52, 74                                  // coordOffset0 d0=9 vc0=2
_v_add_co_u32 v4, vcc, v0, s52                     // coord0.2: coord0 += d0*sg0*VW + vc0
v_cmp_lt_u32 s[52:53], v4, s[sgprSizeI]            // coord0 < size0
v_cmp_lt_u32 s[56:57], v1, s[sgprSizeJ]            // coord1 < size1
s_and_b64 s[56:57], s[52:53], s[56:57]             // in0 && in1
_v_add_lshl_u32 v123, v2, v4, 0x1                  // scaleToBpe: accumulate d0 lower and *= bpe into Cin addr
v_cndmask_b32 v123, -1, v123, s[56:57]             // LDC clip if OOB. offset
_buffer_load_d16_b16 v124, v123, s[sgprSrdC:sgprSrdC+3], 0, offen offset:0 // load C for beta calc
_v_add_lshl_u32 v123, v3, v4, 0x1                  // scaleToBpe: accumulate d0 lower and *= bpe into Cin addr
v_cndmask_b32 v123, -1, v123, s[56:57]             // LDD clip if OOB. offset
/* (d1,vc1,d0,vc0)=(0,0,9,3) */
s_mov_b32 s52, 75                                  // coordOffset0 d0=9 vc0=3
_v_add_co_u32 v4, vcc, v0, s52                     // coord0.2: coord0 += d0*sg0*VW + vc0
v_cmp_lt_u32 s[52:53], v4, s[sgprSizeI]            // coord0 < size0
v_cmp_lt_u32 s[56:57], v1, s[sgprSizeJ]            // coord1 < size1
s_and_b64 s[56:57], s[52:53], s[56:57]             // in0 && in1
_v_add_lshl_u32 v126, v2, v4, 0x1                  // scaleToBpe: accumulate d0 lower and *= bpe into Cin addr
v_cndmask_b32 v126, -1, v126, s[56:57]             // LDC clip if OOB. offset
_buffer_load_d16_hi_b16 v127, v126, s[sgprSrdC:sgprSrdC+3], 0, offen offset:0 // load C for beta calc
_v_add_lshl_u32 v126, v3, v4, 0x1                  // scaleToBpe: accumulate d0 lower and *= bpe into Cin addr
v_cndmask_b32 v126, -1, v126, s[56:57]             // LDD clip if OOB. offset
/* (d1,vc1,d0,vc0)=(0,0,10,0) */
s_mov_b32 s52, 80                                  // coordOffset0 d0=10 vc0=0
_v_add_co_u32 v4, vcc, v0, s52                     // coord0.2: coord0 += d0*sg0*VW + vc0
v_cmp_lt_u32 s[52:53], v4, s[sgprSizeI]            // coord0 < size0
v_cmp_lt_u32 s[56:57], v1, s[sgprSizeJ]            // coord1 < size1
s_and_b64 s[56:57], s[52:53], s[56:57]             // in0 && in1
_v_add_lshl_u32 v129, v2, v4, 0x1                  // scaleToBpe: accumulate d0 lower and *= bpe into Cin addr
v_cndmask_b32 v129, -1, v129, s[56:57]             // LDC clip if OOB. offset
_buffer_load_d16_b16 v130, v129, s[sgprSrdC:sgprSrdC+3], 0, offen offset:0 // load C for beta calc
_v_add_lshl_u32 v129, v3, v4, 0x1                  // scaleToBpe: accumulate d0 lower and *= bpe into Cin addr
v_cndmask_b32 v129, -1, v129, s[56:57]             // LDD clip if OOB. offset
/* (d1,vc1,d0,vc0)=(0,0,10,1) */
s_mov_b32 s52, 81                                  // coordOffset0 d0=10 vc0=1
_v_add_co_u32 v4, vcc, v0, s52                     // coord0.2: coord0 += d0*sg0*VW + vc0
v_cmp_lt_u32 s[52:53], v4, s[sgprSizeI]            // coord0 < size0
v_cmp_lt_u32 s[56:57], v1, s[sgprSizeJ]            // coord1 < size1
s_and_b64 s[56:57], s[52:53], s[56:57]             // in0 && in1
_v_add_lshl_u32 v132, v2, v4, 0x1                  // scaleToBpe: accumulate d0 lower and *= bpe into Cin addr
v_cndmask_b32 v132, -1, v132, s[56:57]             // LDC clip if OOB. offset
_buffer_load_d16_hi_b16 v133, v132, s[sgprSrdC:sgprSrdC+3], 0, offen offset:0 // load C for beta calc
_v_add_lshl_u32 v132, v3, v4, 0x1                  // scaleToBpe: accumulate d0 lower and *= bpe into Cin addr
v_cndmask_b32 v132, -1, v132, s[56:57]             // LDD clip if OOB. offset
/* (d1,vc1,d0,vc0)=(0,0,10,2) */
s_mov_b32 s52, 82                                  // coordOffset0 d0=10 vc0=2
_v_add_co_u32 v4, vcc, v0, s52                     // coord0.2: coord0 += d0*sg0*VW + vc0
v_cmp_lt_u32 s[52:53], v4, s[sgprSizeI]            // coord0 < size0
v_cmp_lt_u32 s[56:57], v1, s[sgprSizeJ]            // coord1 < size1
s_and_b64 s[56:57], s[52:53], s[56:57]             // in0 && in1
_v_add_lshl_u32 v135, v2, v4, 0x1                  // scaleToBpe: accumulate d0 lower and *= bpe into Cin addr
v_cndmask_b32 v135, -1, v135, s[56:57]             // LDC clip if OOB. offset
_buffer_load_d16_b16 v136, v135, s[sgprSrdC:sgprSrdC+3], 0, offen offset:0 // load C for beta calc
_v_add_lshl_u32 v135, v3, v4, 0x1                  // scaleToBpe: accumulate d0 lower and *= bpe into Cin addr
v_cndmask_b32 v135, -1, v135, s[56:57]             // LDD clip if OOB. offset
/* (d1,vc1,d0,vc0)=(0,0,10,3) */
s_mov_b32 s52, 83                                  // coordOffset0 d0=10 vc0=3
_v_add_co_u32 v4, vcc, v0, s52                     // coord0.2: coord0 += d0*sg0*VW + vc0
v_cmp_lt_u32 s[52:53], v4, s[sgprSizeI]            // coord0 < size0
v_cmp_lt_u32 s[56:57], v1, s[sgprSizeJ]            // coord1 < size1
s_and_b64 s[56:57], s[52:53], s[56:57]             // in0 && in1
_v_add_lshl_u32 v138, v2, v4, 0x1                  // scaleToBpe: accumulate d0 lower and *= bpe into Cin addr
v_cndmask_b32 v138, -1, v138, s[56:57]             // LDC clip if OOB. offset
_buffer_load_d16_hi_b16 v139, v138, s[sgprSrdC:sgprSrdC+3], 0, offen offset:0 // load C for beta calc
_v_add_lshl_u32 v138, v3, v4, 0x1                  // scaleToBpe: accumulate d0 lower and *= bpe into Cin addr
v_cndmask_b32 v138, -1, v138, s[56:57]             // LDD clip if OOB. offset
/* (d1,vc1,d0,vc0)=(0,0,11,0) */
s_mov_b32 s52, 88                                  // coordOffset0 d0=11 vc0=0
_v_add_co_u32 v4, vcc, v0, s52                     // coord0.2: coord0 += d0*sg0*VW + vc0
v_cmp_lt_u32 s[52:53], v4, s[sgprSizeI]            // coord0 < size0
v_cmp_lt_u32 s[56:57], v1, s[sgprSizeJ]            // coord1 < size1
s_and_b64 s[56:57], s[52:53], s[56:57]             // in0 && in1
_v_add_lshl_u32 v141, v2, v4, 0x1                  // scaleToBpe: accumulate d0 lower and *= bpe into Cin addr
v_cndmask_b32 v141, -1, v141, s[56:57]             // LDC clip if OOB. offset
_buffer_load_d16_b16 v142, v141, s[sgprSrdC:sgprSrdC+3], 0, offen offset:0 // load C for beta calc
_v_add_lshl_u32 v141, v3, v4, 0x1                  // scaleToBpe: accumulate d0 lower and *= bpe into Cin addr
v_cndmask_b32 v141, -1, v141, s[56:57]             // LDD clip if OOB. offset
/* (d1,vc1,d0,vc0)=(0,0,11,1) */
s_mov_b32 s52, 89                                  // coordOffset0 d0=11 vc0=1
_v_add_co_u32 v4, vcc, v0, s52                     // coord0.2: coord0 += d0*sg0*VW + vc0
v_cmp_lt_u32 s[52:53], v4, s[sgprSizeI]            // coord0 < size0
v_cmp_lt_u32 s[56:57], v1, s[sgprSizeJ]            // coord1 < size1
s_and_b64 s[56:57], s[52:53], s[56:57]             // in0 && in1
_v_add_lshl_u32 v144, v2, v4, 0x1                  // scaleToBpe: accumulate d0 lower and *= bpe into Cin addr
v_cndmask_b32 v144, -1, v144, s[56:57]             // LDC clip if OOB. offset
_buffer_load_d16_hi_b16 v145, v144, s[sgprSrdC:sgprSrdC+3], 0, offen offset:0 // load C for beta calc
_v_add_lshl_u32 v144, v3, v4, 0x1                  // scaleToBpe: accumulate d0 lower and *= bpe into Cin addr
v_cndmask_b32 v144, -1, v144, s[56:57]             // LDD clip if OOB. offset
/* (d1,vc1,d0,vc0)=(0,0,11,2) */
s_mov_b32 s52, 90                                  // coordOffset0 d0=11 vc0=2
_v_add_co_u32 v4, vcc, v0, s52                     // coord0.2: coord0 += d0*sg0*VW + vc0
v_cmp_lt_u32 s[52:53], v4, s[sgprSizeI]            // coord0 < size0
v_cmp_lt_u32 s[56:57], v1, s[sgprSizeJ]            // coord1 < size1
s_and_b64 s[56:57], s[52:53], s[56:57]             // in0 && in1
_v_add_lshl_u32 v147, v2, v4, 0x1                  // scaleToBpe: accumulate d0 lower and *= bpe into Cin addr
v_cndmask_b32 v147, -1, v147, s[56:57]             // LDC clip if OOB. offset
_buffer_load_d16_b16 v148, v147, s[sgprSrdC:sgprSrdC+3], 0, offen offset:0 // load C for beta calc
_v_add_lshl_u32 v147, v3, v4, 0x1                  // scaleToBpe: accumulate d0 lower and *= bpe into Cin addr
v_cndmask_b32 v147, -1, v147, s[56:57]             // LDD clip if OOB. offset
/* (d1,vc1,d0,vc0)=(0,0,11,3) */
s_mov_b32 s52, 91                                  // coordOffset0 d0=11 vc0=3
_v_add_co_u32 v4, vcc, v0, s52                     // coord0.2: coord0 += d0*sg0*VW + vc0
v_cmp_lt_u32 s[52:53], v4, s[sgprSizeI]            // coord0 < size0
v_cmp_lt_u32 s[56:57], v1, s[sgprSizeJ]            // coord1 < size1
s_and_b64 s[56:57], s[52:53], s[56:57]             // in0 && in1
_v_add_lshl_u32 v150, v2, v4, 0x1                  // scaleToBpe: accumulate d0 lower and *= bpe into Cin addr
v_cndmask_b32 v150, -1, v150, s[56:57]             // LDC clip if OOB. offset
_buffer_load_d16_hi_b16 v151, v150, s[sgprSrdC:sgprSrdC+3], 0, offen offset:0 // load C for beta calc
_v_add_lshl_u32 v150, v3, v4, 0x1                  // scaleToBpe: accumulate d0 lower and *= bpe into Cin addr
v_cndmask_b32 v150, -1, v150, s[56:57]             // LDD clip if OOB. offset
/* (d1,vc1,d0,vc0)=(0,0,12,0) */
s_mov_b32 s52, 96                                  // coordOffset0 d0=12 vc0=0
_v_add_co_u32 v4, vcc, v0, s52                     // coord0.2: coord0 += d0*sg0*VW + vc0
v_cmp_lt_u32 s[52:53], v4, s[sgprSizeI]            // coord0 < size0
v_cmp_lt_u32 s[56:57], v1, s[sgprSizeJ]            // coord1 < size1
s_and_b64 s[56:57], s[52:53], s[56:57]             // in0 && in1
_v_add_lshl_u32 v153, v2, v4, 0x1                  // scaleToBpe: accumulate d0 lower and *= bpe into Cin addr
v_cndmask_b32 v153, -1, v153, s[56:57]             // LDC clip if OOB. offset
_buffer_load_d16_b16 v154, v153, s[sgprSrdC:sgprSrdC+3], 0, offen offset:0 // load C for beta calc
_v_add_lshl_u32 v153, v3, v4, 0x1                  // scaleToBpe: accumulate d0 lower and *= bpe into Cin addr
v_cndmask_b32 v153, -1, v153, s[56:57]             // LDD clip if OOB. offset
/* (d1,vc1,d0,vc0)=(0,0,12,1) */
s_mov_b32 s52, 97                                  // coordOffset0 d0=12 vc0=1
_v_add_co_u32 v4, vcc, v0, s52                     // coord0.2: coord0 += d0*sg0*VW + vc0
v_cmp_lt_u32 s[52:53], v4, s[sgprSizeI]            // coord0 < size0
v_cmp_lt_u32 s[56:57], v1, s[sgprSizeJ]            // coord1 < size1
s_and_b64 s[56:57], s[52:53], s[56:57]             // in0 && in1
_v_add_lshl_u32 v156, v2, v4, 0x1                  // scaleToBpe: accumulate d0 lower and *= bpe into Cin addr
v_cndmask_b32 v156, -1, v156, s[56:57]             // LDC clip if OOB. offset
_buffer_load_d16_hi_b16 v157, v156, s[sgprSrdC:sgprSrdC+3], 0, offen offset:0 // load C for beta calc
_v_add_lshl_u32 v156, v3, v4, 0x1                  // scaleToBpe: accumulate d0 lower and *= bpe into Cin addr
v_cndmask_b32 v156, -1, v156, s[56:57]             // LDD clip if OOB. offset
/* (d1,vc1,d0,vc0)=(0,0,12,2) */
s_mov_b32 s52, 98                                  // coordOffset0 d0=12 vc0=2
_v_add_co_u32 v4, vcc, v0, s52                     // coord0.2: coord0 += d0*sg0*VW + vc0
v_cmp_lt_u32 s[52:53], v4, s[sgprSizeI]            // coord0 < size0
v_cmp_lt_u32 s[56:57], v1, s[sgprSizeJ]            // coord1 < size1
s_and_b64 s[56:57], s[52:53], s[56:57]             // in0 && in1
_v_add_lshl_u32 v159, v2, v4, 0x1                  // scaleToBpe: accumulate d0 lower and *= bpe into Cin addr
v_cndmask_b32 v159, -1, v159, s[56:57]             // LDC clip if OOB. offset
_buffer_load_d16_b16 v160, v159, s[sgprSrdC:sgprSrdC+3], 0, offen offset:0 // load C for beta calc
_v_add_lshl_u32 v159, v3, v4, 0x1                  // scaleToBpe: accumulate d0 lower and *= bpe into Cin addr
v_cndmask_b32 v159, -1, v159, s[56:57]             // LDD clip if OOB. offset
/* (d1,vc1,d0,vc0)=(0,0,12,3) */
s_mov_b32 s52, 99                                  // coordOffset0 d0=12 vc0=3
_v_add_co_u32 v4, vcc, v0, s52                     // coord0.2: coord0 += d0*sg0*VW + vc0
v_cmp_lt_u32 s[52:53], v4, s[sgprSizeI]            // coord0 < size0
v_cmp_lt_u32 s[56:57], v1, s[sgprSizeJ]            // coord1 < size1
s_and_b64 s[56:57], s[52:53], s[56:57]             // in0 && in1
_v_add_lshl_u32 v162, v2, v4, 0x1                  // scaleToBpe: accumulate d0 lower and *= bpe into Cin addr
v_cndmask_b32 v162, -1, v162, s[56:57]             // LDC clip if OOB. offset
_buffer_load_d16_hi_b16 v163, v162, s[sgprSrdC:sgprSrdC+3], 0, offen offset:0 // load C for beta calc
_v_add_lshl_u32 v162, v3, v4, 0x1                  // scaleToBpe: accumulate d0 lower and *= bpe into Cin addr
v_cndmask_b32 v162, -1, v162, s[56:57]             // LDD clip if OOB. offset
/* (d1,vc1,d0,vc0)=(0,0,13,0) */
s_mov_b32 s52, 104                                 // coordOffset0 d0=13 vc0=0
_v_add_co_u32 v4, vcc, v0, s52                     // coord0.2: coord0 += d0*sg0*VW + vc0
v_cmp_lt_u32 s[52:53], v4, s[sgprSizeI]            // coord0 < size0
v_cmp_lt_u32 s[56:57], v1, s[sgprSizeJ]            // coord1 < size1
s_and_b64 s[56:57], s[52:53], s[56:57]             // in0 && in1
_v_add_lshl_u32 v165, v2, v4, 0x1                  // scaleToBpe: accumulate d0 lower and *= bpe into Cin addr
v_cndmask_b32 v165, -1, v165, s[56:57]             // LDC clip if OOB. offset
_buffer_load_d16_b16 v166, v165, s[sgprSrdC:sgprSrdC+3], 0, offen offset:0 // load C for beta calc
_v_add_lshl_u32 v165, v3, v4, 0x1                  // scaleToBpe: accumulate d0 lower and *= bpe into Cin addr
v_cndmask_b32 v165, -1, v165, s[56:57]             // LDD clip if OOB. offset
/* (d1,vc1,d0,vc0)=(0,0,13,1) */
s_mov_b32 s52, 105                                 // coordOffset0 d0=13 vc0=1
_v_add_co_u32 v4, vcc, v0, s52                     // coord0.2: coord0 += d0*sg0*VW + vc0
v_cmp_lt_u32 s[52:53], v4, s[sgprSizeI]            // coord0 < size0
v_cmp_lt_u32 s[56:57], v1, s[sgprSizeJ]            // coord1 < size1
s_and_b64 s[56:57], s[52:53], s[56:57]             // in0 && in1
_v_add_lshl_u32 v168, v2, v4, 0x1                  // scaleToBpe: accumulate d0 lower and *= bpe into Cin addr
v_cndmask_b32 v168, -1, v168, s[56:57]             // LDC clip if OOB. offset
_buffer_load_d16_hi_b16 v169, v168, s[sgprSrdC:sgprSrdC+3], 0, offen offset:0 // load C for beta calc
_v_add_lshl_u32 v168, v3, v4, 0x1                  // scaleToBpe: accumulate d0 lower and *= bpe into Cin addr
v_cndmask_b32 v168, -1, v168, s[56:57]             // LDD clip if OOB. offset
/* (d1,vc1,d0,vc0)=(0,0,13,2) */
s_mov_b32 s52, 106                                 // coordOffset0 d0=13 vc0=2
_v_add_co_u32 v4, vcc, v0, s52                     // coord0.2: coord0 += d0*sg0*VW + vc0
v_cmp_lt_u32 s[52:53], v4, s[sgprSizeI]            // coord0 < size0
v_cmp_lt_u32 s[56:57], v1, s[sgprSizeJ]            // coord1 < size1
s_and_b64 s[56:57], s[52:53], s[56:57]             // in0 && in1
_v_add_lshl_u32 v171, v2, v4, 0x1                  // scaleToBpe: accumulate d0 lower and *= bpe into Cin addr
v_cndmask_b32 v171, -1, v171, s[56:57]             // LDC clip if OOB. offset
_buffer_load_d16_b16 v172, v171, s[sgprSrdC:sgprSrdC+3], 0, offen offset:0 // load C for beta calc
_v_add_lshl_u32 v171, v3, v4, 0x1                  // scaleToBpe: accumulate d0 lower and *= bpe into Cin addr
v_cndmask_b32 v171, -1, v171, s[56:57]             // LDD clip if OOB. offset
/* (d1,vc1,d0,vc0)=(0,0,13,3) */
s_mov_b32 s52, 107                                 // coordOffset0 d0=13 vc0=3
	;; [unrolled: 22-line block ×14, first 2 shown]
_v_add_co_u32 v4, vcc, v0, s52                     // coord0.2: coord0 += d0*sg0*VW + vc0
v_cmp_lt_u32 s[52:53], v4, s[sgprSizeI]            // coord0 < size0
v_cmp_lt_u32 s[56:57], v1, s[sgprSizeJ]            // coord1 < size1
s_and_b64 s[56:57], s[52:53], s[56:57]             // in0 && in1
_v_add_lshl_u32 v246, v2, v4, 0x1                  // scaleToBpe: accumulate d0 lower and *= bpe into Cin addr
v_cndmask_b32 v246, -1, v246, s[56:57]             // LDC clip if OOB. offset
_buffer_load_d16_hi_b16 v247, v246, s[sgprSrdC:sgprSrdC+3], 0, offen offset:0 // load C for beta calc
_v_add_lshl_u32 v246, v3, v4, 0x1                  // scaleToBpe: accumulate d0 lower and *= bpe into Cin addr
v_cndmask_b32 v246, -1, v246, s[56:57]             // LDD clip if OOB. offset
v_accvgpr_read_b32 v[vgprValuC+8], acc0 // copy acc to vreg[0]
v_accvgpr_read_b32 v[vgprValuC+11], acc1 // copy acc to vreg[1]
v_accvgpr_read_b32 v[vgprValuC+14], acc2 // copy acc to vreg[2]
v_accvgpr_read_b32 v[vgprValuC+17], acc3 // copy acc to vreg[3]
v_accvgpr_read_b32 v[vgprValuC+20], acc4 // copy acc to vreg[4]
v_accvgpr_read_b32 v[vgprValuC+23], acc5 // copy acc to vreg[5]
v_accvgpr_read_b32 v[vgprValuC+26], acc6 // copy acc to vreg[6]
v_accvgpr_read_b32 v[vgprValuC+29], acc7 // copy acc to vreg[7]
v_accvgpr_read_b32 v[vgprValuC+32], acc8 // copy acc to vreg[8]
v_accvgpr_read_b32 v[vgprValuC+35], acc9 // copy acc to vreg[9]
v_accvgpr_read_b32 v[vgprValuC+38], acc10 // copy acc to vreg[10]
v_accvgpr_read_b32 v[vgprValuC+41], acc11 // copy acc to vreg[11]
v_accvgpr_read_b32 v[vgprValuC+44], acc12 // copy acc to vreg[12]
v_accvgpr_read_b32 v[vgprValuC+47], acc13 // copy acc to vreg[13]
v_accvgpr_read_b32 v[vgprValuC+50], acc14 // copy acc to vreg[14]
v_accvgpr_read_b32 v[vgprValuC+53], acc15 // copy acc to vreg[15]
v_accvgpr_read_b32 v[vgprValuC+56], acc16 // copy acc to vreg[16]
v_accvgpr_read_b32 v[vgprValuC+59], acc17 // copy acc to vreg[17]
v_accvgpr_read_b32 v[vgprValuC+62], acc18 // copy acc to vreg[18]
v_accvgpr_read_b32 v[vgprValuC+65], acc19 // copy acc to vreg[19]
v_accvgpr_read_b32 v[vgprValuC+68], acc20 // copy acc to vreg[20]
v_accvgpr_read_b32 v[vgprValuC+71], acc21 // copy acc to vreg[21]
v_accvgpr_read_b32 v[vgprValuC+74], acc22 // copy acc to vreg[22]
v_accvgpr_read_b32 v[vgprValuC+77], acc23 // copy acc to vreg[23]
v_accvgpr_read_b32 v[vgprValuC+83], acc24 // copy acc to vreg[24]
v_accvgpr_read_b32 v[vgprValuC+86], acc25 // copy acc to vreg[25]
v_accvgpr_read_b32 v[vgprValuC+89], acc26 // copy acc to vreg[26]
v_accvgpr_read_b32 v[vgprValuC+92], acc27 // copy acc to vreg[27]
v_accvgpr_read_b32 v[vgprValuC+95], acc28 // copy acc to vreg[28]
v_accvgpr_read_b32 v[vgprValuC+98], acc29 // copy acc to vreg[29]
v_accvgpr_read_b32 v[vgprValuC+101], acc30 // copy acc to vreg[30]
v_accvgpr_read_b32 v[vgprValuC+104], acc31 // copy acc to vreg[31]
v_accvgpr_read_b32 v[vgprValuC+107], acc32 // copy acc to vreg[32]
v_accvgpr_read_b32 v[vgprValuC+110], acc33 // copy acc to vreg[33]
v_accvgpr_read_b32 v[vgprValuC+113], acc34 // copy acc to vreg[34]
v_accvgpr_read_b32 v[vgprValuC+116], acc35 // copy acc to vreg[35]
v_accvgpr_read_b32 v[vgprValuC+119], acc36 // copy acc to vreg[36]
v_accvgpr_read_b32 v[vgprValuC+122], acc37 // copy acc to vreg[37]
v_accvgpr_read_b32 v[vgprValuC+125], acc38 // copy acc to vreg[38]
v_accvgpr_read_b32 v[vgprValuC+128], acc39 // copy acc to vreg[39]
v_accvgpr_read_b32 v[vgprValuC+131], acc40 // copy acc to vreg[40]
v_accvgpr_read_b32 v[vgprValuC+134], acc41 // copy acc to vreg[41]
v_accvgpr_read_b32 v[vgprValuC+137], acc42 // copy acc to vreg[42]
v_accvgpr_read_b32 v[vgprValuC+140], acc43 // copy acc to vreg[43]
v_accvgpr_read_b32 v[vgprValuC+143], acc44 // copy acc to vreg[44]
v_accvgpr_read_b32 v[vgprValuC+146], acc45 // copy acc to vreg[45]
v_accvgpr_read_b32 v[vgprValuC+149], acc46 // copy acc to vreg[46]
v_accvgpr_read_b32 v[vgprValuC+152], acc47 // copy acc to vreg[47]
v_accvgpr_read_b32 v[vgprValuC+155], acc48 // copy acc to vreg[48]
v_accvgpr_read_b32 v[vgprValuC+158], acc49 // copy acc to vreg[49]
v_accvgpr_read_b32 v[vgprValuC+161], acc50 // copy acc to vreg[50]
v_accvgpr_read_b32 v[vgprValuC+164], acc51 // copy acc to vreg[51]
v_accvgpr_read_b32 v[vgprValuC+167], acc52 // copy acc to vreg[52]
v_accvgpr_read_b32 v[vgprValuC+170], acc53 // copy acc to vreg[53]
v_accvgpr_read_b32 v[vgprValuC+173], acc54 // copy acc to vreg[54]
v_accvgpr_read_b32 v[vgprValuC+176], acc55 // copy acc to vreg[55]
v_accvgpr_read_b32 v[vgprValuC+179], acc56 // copy acc to vreg[56]
v_accvgpr_read_b32 v[vgprValuC+182], acc57 // copy acc to vreg[57]
v_accvgpr_read_b32 v[vgprValuC+185], acc58 // copy acc to vreg[58]
v_accvgpr_read_b32 v[vgprValuC+188], acc59 // copy acc to vreg[59]
v_accvgpr_read_b32 v[vgprValuC+191], acc60 // copy acc to vreg[60]
v_accvgpr_read_b32 v[vgprValuC+194], acc61 // copy acc to vreg[61]
v_accvgpr_read_b32 v[vgprValuC+197], acc62 // copy acc to vreg[62]
v_accvgpr_read_b32 v[vgprValuC+200], acc63 // copy acc to vreg[63]
v_accvgpr_read_b32 v[vgprValuC+203], acc64 // copy acc to vreg[64]
v_accvgpr_read_b32 v[vgprValuC+206], acc65 // copy acc to vreg[65]
v_accvgpr_read_b32 v[vgprValuC+209], acc66 // copy acc to vreg[66]
v_accvgpr_read_b32 v[vgprValuC+212], acc67 // copy acc to vreg[67]
v_accvgpr_read_b32 v[vgprValuC+215], acc68 // copy acc to vreg[68]
v_accvgpr_read_b32 v[vgprValuC+218], acc69 // copy acc to vreg[69]
v_accvgpr_read_b32 v[vgprValuC+221], acc70 // copy acc to vreg[70]
v_accvgpr_read_b32 v[vgprValuC+224], acc71 // copy acc to vreg[71]
v_accvgpr_read_b32 v[vgprValuC+227], acc72 // copy acc to vreg[72]
v_accvgpr_read_b32 v[vgprValuC+230], acc73 // copy acc to vreg[73]
v_accvgpr_read_b32 v[vgprValuC+233], acc74 // copy acc to vreg[74]
v_accvgpr_read_b32 v[vgprValuC+236], acc75 // copy acc to vreg[75]
v_accvgpr_read_b32 v[vgprValuC+239], acc76 // copy acc to vreg[76]
v_accvgpr_read_b32 v[vgprValuC+242], acc77 // copy acc to vreg[77]
v_accvgpr_read_b32 v[vgprValuC+245], acc78 // copy acc to vreg[78]
v_accvgpr_read_b32 v[vgprValuC+248], acc79 // copy acc to vreg[79]
s_nop 1                                            // 2 wait states required before reading vgpr

/* rC *= alpha batchElements=[(0, 0, 0, 0), (0, 0, 0, 1), (0, 0, 0, 2), (0, 0, 0, 3), (0, 1, 0, 0), (0, 1, 0, 1), (0, 1, 0, 2), (0, 1, 0, 3), (0, 2, 0, 0), (0, 2, 0, 1), (0, 2, 0, 2), (0, 2, 0, 3), (0, 3, 0, 0), (0, 3, 0, 1), (0, 3, 0, 2), (0, 3, 0, 3), (0, 4, 0, 0), (0, 4, 0, 1), (0, 4, 0, 2), (0, 4, 0, 3), (0, 5, 0, 0), (0, 5, 0, 1), (0, 5, 0, 2), (0, 5, 0, 3), (0, 6, 0, 0), (0, 6, 0, 1), (0, 6, 0, 2), (0, 6, 0, 3), (0, 7, 0, 0), (0, 7, 0, 1), (0, 7, 0, 2), (0, 7, 0, 3), (0, 8, 0, 0), (0, 8, 0, 1), (0, 8, 0, 2), (0, 8, 0, 3), (0, 9, 0, 0), (0, 9, 0, 1), (0, 9, 0, 2), (0, 9, 0, 3), (0, 10, 0, 0), (0, 10, 0, 1), (0, 10, 0, 2), (0, 10, 0, 3), (0, 11, 0, 0), (0, 11, 0, 1), (0, 11, 0, 2), (0, 11, 0, 3), (0, 12, 0, 0), (0, 12, 0, 1), (0, 12, 0, 2), (0, 12, 0, 3), (0, 13, 0, 0), (0, 13, 0, 1), (0, 13, 0, 2), (0, 13, 0, 3), (0, 14, 0, 0), (0, 14, 0, 1), (0, 14, 0, 2), (0, 14, 0, 3), (0, 15, 0, 0), (0, 15, 0, 1), (0, 15, 0, 2), (0, 15, 0, 3), (0, 16, 0, 0), (0, 16, 0, 1), (0, 16, 0, 2), (0, 16, 0, 3), (0, 17, 0, 0), (0, 17, 0, 1), (0, 17, 0, 2), (0, 17, 0, 3), (0, 18, 0, 0), (0, 18, 0, 1), (0, 18, 0, 2), (0, 18, 0, 3), (0, 19, 0, 0), (0, 19, 0, 1), (0, 19, 0, 2), (0, 19, 0, 3)] */
v_mul_f32 v[vgprValuC+8], s[sgprAlpha], v[vgprValuC+8] // *= alpha
v_mul_f32 v[vgprValuC+11], s[sgprAlpha], v[vgprValuC+11] // *= alpha
	;; [unrolled: 1-line block ×80, first 2 shown]
s_waitcnt vmcnt(0)                                 // wait C

/* apply mask, calc new C and issue writes */
v_fma_mix_f32 v[vgprValuC+8], s[sgprBeta], v7, v[vgprValuC+8], op_sel:[0,0,0] op_sel_hi:[0,1,0] // //C*=beta
v_cvt_f16_f32 v[vgprValuC+8], v[vgprValuC+8]       // convert C to fp16
_buffer_store_b16 v8, v6, s[sgprSrdD:sgprSrdD+3], 0, offen, offset:0 // store D
v_fma_mix_f32 v[vgprValuC+11], s[sgprBeta], v10, v[vgprValuC+11], op_sel:[0,1,0] op_sel_hi:[0,1,0] // //C*=beta
v_cvt_f16_f32 v[vgprValuC+11], v[vgprValuC+11]     // convert C to fp16
_buffer_store_b16 v11, v9, s[sgprSrdD:sgprSrdD+3], 0, offen, offset:0 // store D
v_fma_mix_f32 v[vgprValuC+14], s[sgprBeta], v13, v[vgprValuC+14], op_sel:[0,0,0] op_sel_hi:[0,1,0] // //C*=beta
v_cvt_f16_f32 v[vgprValuC+14], v[vgprValuC+14]     // convert C to fp16
	;; [unrolled: 3-line block ×29, first 2 shown]
_buffer_store_b16 v98, v96, s[sgprSrdD:sgprSrdD+3], 0, offen, offset:0 // store D
v_fma_mix_f32 v[vgprValuC+101], s[sgprBeta], v100, v[vgprValuC+101], op_sel:[0,0,0] op_sel_hi:[0,1,0] // //C*=beta
v_cvt_f16_f32 v[vgprValuC+101], v[vgprValuC+101]   // convert C to fp16
_buffer_store_b16 v101, v99, s[sgprSrdD:sgprSrdD+3], 0, offen, offset:0 // store D
v_fma_mix_f32 v[vgprValuC+104], s[sgprBeta], v103, v[vgprValuC+104], op_sel:[0,1,0] op_sel_hi:[0,1,0] // //C*=beta
v_cvt_f16_f32 v[vgprValuC+104], v[vgprValuC+104]   // convert C to fp16
	;; [unrolled: 3-line block ×50, first 2 shown]
_buffer_store_b16 v248, v246, s[sgprSrdD:sgprSrdD+3], 0, offen, offset:0 // store D
s_nop 0                                            // 1 wait state required when next inst writes vgprs held by previous dwordx4 store inst
s_branch label_GW_End_207                          // jump to end
label_GW_End_207:

label_0212:  /// KernelEnd
s_endpgm                                           // Kernel End

